;; amdgpu-corpus repo=ROCm/rocFFT kind=compiled arch=gfx1201 opt=O3
	.text
	.amdgcn_target "amdgcn-amd-amdhsa--gfx1201"
	.amdhsa_code_object_version 6
	.protected	fft_rtc_fwd_len825_factors_11_5_5_3_wgs_55_tpt_55_dp_ip_CI_sbrr_dirReg ; -- Begin function fft_rtc_fwd_len825_factors_11_5_5_3_wgs_55_tpt_55_dp_ip_CI_sbrr_dirReg
	.globl	fft_rtc_fwd_len825_factors_11_5_5_3_wgs_55_tpt_55_dp_ip_CI_sbrr_dirReg
	.p2align	8
	.type	fft_rtc_fwd_len825_factors_11_5_5_3_wgs_55_tpt_55_dp_ip_CI_sbrr_dirReg,@function
fft_rtc_fwd_len825_factors_11_5_5_3_wgs_55_tpt_55_dp_ip_CI_sbrr_dirReg: ; @fft_rtc_fwd_len825_factors_11_5_5_3_wgs_55_tpt_55_dp_ip_CI_sbrr_dirReg
; %bb.0:
	s_clause 0x2
	s_load_b64 s[12:13], s[0:1], 0x18
	s_load_b128 s[4:7], s[0:1], 0x0
	s_load_b64 s[10:11], s[0:1], 0x50
	v_mul_u32_u24_e32 v1, 0x4a8, v0
	v_mov_b32_e32 v3, 0
	s_delay_alu instid0(VALU_DEP_2) | instskip(NEXT) | instid1(VALU_DEP_1)
	v_lshrrev_b32_e32 v1, 16, v1
	v_add_nc_u32_e32 v5, ttmp9, v1
	v_mov_b32_e32 v1, 0
	v_mov_b32_e32 v2, 0
	;; [unrolled: 1-line block ×3, first 2 shown]
	s_wait_kmcnt 0x0
	s_load_b64 s[8:9], s[12:13], 0x0
	v_cmp_lt_u64_e64 s2, s[6:7], 2
	s_delay_alu instid0(VALU_DEP_1)
	s_and_b32 vcc_lo, exec_lo, s2
	s_cbranch_vccnz .LBB0_8
; %bb.1:
	s_load_b64 s[2:3], s[0:1], 0x10
	v_mov_b32_e32 v1, 0
	v_mov_b32_e32 v2, 0
	s_add_nc_u64 s[14:15], s[12:13], 8
	s_mov_b64 s[16:17], 1
	s_wait_kmcnt 0x0
	s_add_nc_u64 s[18:19], s[2:3], 8
	s_mov_b32 s3, 0
.LBB0_2:                                ; =>This Inner Loop Header: Depth=1
	s_load_b64 s[20:21], s[18:19], 0x0
                                        ; implicit-def: $vgpr7_vgpr8
	s_mov_b32 s2, exec_lo
	s_wait_kmcnt 0x0
	v_or_b32_e32 v4, s21, v6
	s_delay_alu instid0(VALU_DEP_1)
	v_cmpx_ne_u64_e32 0, v[3:4]
	s_wait_alu 0xfffe
	s_xor_b32 s22, exec_lo, s2
	s_cbranch_execz .LBB0_4
; %bb.3:                                ;   in Loop: Header=BB0_2 Depth=1
	s_cvt_f32_u32 s2, s20
	s_cvt_f32_u32 s23, s21
	s_sub_nc_u64 s[26:27], 0, s[20:21]
	s_wait_alu 0xfffe
	s_delay_alu instid0(SALU_CYCLE_1) | instskip(SKIP_1) | instid1(SALU_CYCLE_2)
	s_fmamk_f32 s2, s23, 0x4f800000, s2
	s_wait_alu 0xfffe
	v_s_rcp_f32 s2, s2
	s_delay_alu instid0(TRANS32_DEP_1) | instskip(SKIP_1) | instid1(SALU_CYCLE_2)
	s_mul_f32 s2, s2, 0x5f7ffffc
	s_wait_alu 0xfffe
	s_mul_f32 s23, s2, 0x2f800000
	s_wait_alu 0xfffe
	s_delay_alu instid0(SALU_CYCLE_2) | instskip(SKIP_1) | instid1(SALU_CYCLE_2)
	s_trunc_f32 s23, s23
	s_wait_alu 0xfffe
	s_fmamk_f32 s2, s23, 0xcf800000, s2
	s_cvt_u32_f32 s25, s23
	s_wait_alu 0xfffe
	s_delay_alu instid0(SALU_CYCLE_1) | instskip(SKIP_1) | instid1(SALU_CYCLE_2)
	s_cvt_u32_f32 s24, s2
	s_wait_alu 0xfffe
	s_mul_u64 s[28:29], s[26:27], s[24:25]
	s_wait_alu 0xfffe
	s_mul_hi_u32 s31, s24, s29
	s_mul_i32 s30, s24, s29
	s_mul_hi_u32 s2, s24, s28
	s_mul_i32 s33, s25, s28
	s_wait_alu 0xfffe
	s_add_nc_u64 s[30:31], s[2:3], s[30:31]
	s_mul_hi_u32 s23, s25, s28
	s_mul_hi_u32 s34, s25, s29
	s_add_co_u32 s2, s30, s33
	s_wait_alu 0xfffe
	s_add_co_ci_u32 s2, s31, s23
	s_mul_i32 s28, s25, s29
	s_add_co_ci_u32 s29, s34, 0
	s_wait_alu 0xfffe
	s_add_nc_u64 s[28:29], s[2:3], s[28:29]
	s_wait_alu 0xfffe
	v_add_co_u32 v4, s2, s24, s28
	s_delay_alu instid0(VALU_DEP_1) | instskip(SKIP_1) | instid1(VALU_DEP_1)
	s_cmp_lg_u32 s2, 0
	s_add_co_ci_u32 s25, s25, s29
	v_readfirstlane_b32 s24, v4
	s_wait_alu 0xfffe
	s_delay_alu instid0(VALU_DEP_1)
	s_mul_u64 s[26:27], s[26:27], s[24:25]
	s_wait_alu 0xfffe
	s_mul_hi_u32 s29, s24, s27
	s_mul_i32 s28, s24, s27
	s_mul_hi_u32 s2, s24, s26
	s_mul_i32 s30, s25, s26
	s_wait_alu 0xfffe
	s_add_nc_u64 s[28:29], s[2:3], s[28:29]
	s_mul_hi_u32 s23, s25, s26
	s_mul_hi_u32 s24, s25, s27
	s_wait_alu 0xfffe
	s_add_co_u32 s2, s28, s30
	s_add_co_ci_u32 s2, s29, s23
	s_mul_i32 s26, s25, s27
	s_add_co_ci_u32 s27, s24, 0
	s_wait_alu 0xfffe
	s_add_nc_u64 s[26:27], s[2:3], s[26:27]
	s_wait_alu 0xfffe
	v_add_co_u32 v4, s2, v4, s26
	s_delay_alu instid0(VALU_DEP_1) | instskip(SKIP_1) | instid1(VALU_DEP_1)
	s_cmp_lg_u32 s2, 0
	s_add_co_ci_u32 s2, s25, s27
	v_mul_hi_u32 v13, v5, v4
	s_wait_alu 0xfffe
	v_mad_co_u64_u32 v[7:8], null, v5, s2, 0
	v_mad_co_u64_u32 v[9:10], null, v6, v4, 0
	;; [unrolled: 1-line block ×3, first 2 shown]
	s_delay_alu instid0(VALU_DEP_3) | instskip(SKIP_1) | instid1(VALU_DEP_4)
	v_add_co_u32 v4, vcc_lo, v13, v7
	s_wait_alu 0xfffd
	v_add_co_ci_u32_e32 v7, vcc_lo, 0, v8, vcc_lo
	s_delay_alu instid0(VALU_DEP_2) | instskip(SKIP_1) | instid1(VALU_DEP_2)
	v_add_co_u32 v4, vcc_lo, v4, v9
	s_wait_alu 0xfffd
	v_add_co_ci_u32_e32 v4, vcc_lo, v7, v10, vcc_lo
	s_wait_alu 0xfffd
	v_add_co_ci_u32_e32 v7, vcc_lo, 0, v12, vcc_lo
	s_delay_alu instid0(VALU_DEP_2) | instskip(SKIP_1) | instid1(VALU_DEP_2)
	v_add_co_u32 v4, vcc_lo, v4, v11
	s_wait_alu 0xfffd
	v_add_co_ci_u32_e32 v9, vcc_lo, 0, v7, vcc_lo
	s_delay_alu instid0(VALU_DEP_2) | instskip(SKIP_1) | instid1(VALU_DEP_3)
	v_mul_lo_u32 v10, s21, v4
	v_mad_co_u64_u32 v[7:8], null, s20, v4, 0
	v_mul_lo_u32 v11, s20, v9
	s_delay_alu instid0(VALU_DEP_2) | instskip(NEXT) | instid1(VALU_DEP_2)
	v_sub_co_u32 v7, vcc_lo, v5, v7
	v_add3_u32 v8, v8, v11, v10
	s_delay_alu instid0(VALU_DEP_1) | instskip(SKIP_1) | instid1(VALU_DEP_1)
	v_sub_nc_u32_e32 v10, v6, v8
	s_wait_alu 0xfffd
	v_subrev_co_ci_u32_e64 v10, s2, s21, v10, vcc_lo
	v_add_co_u32 v11, s2, v4, 2
	s_wait_alu 0xf1ff
	v_add_co_ci_u32_e64 v12, s2, 0, v9, s2
	v_sub_co_u32 v13, s2, v7, s20
	v_sub_co_ci_u32_e32 v8, vcc_lo, v6, v8, vcc_lo
	s_wait_alu 0xf1ff
	v_subrev_co_ci_u32_e64 v10, s2, 0, v10, s2
	s_delay_alu instid0(VALU_DEP_3) | instskip(NEXT) | instid1(VALU_DEP_3)
	v_cmp_le_u32_e32 vcc_lo, s20, v13
	v_cmp_eq_u32_e64 s2, s21, v8
	s_wait_alu 0xfffd
	v_cndmask_b32_e64 v13, 0, -1, vcc_lo
	v_cmp_le_u32_e32 vcc_lo, s21, v10
	s_wait_alu 0xfffd
	v_cndmask_b32_e64 v14, 0, -1, vcc_lo
	v_cmp_le_u32_e32 vcc_lo, s20, v7
	;; [unrolled: 3-line block ×3, first 2 shown]
	s_wait_alu 0xfffd
	v_cndmask_b32_e64 v15, 0, -1, vcc_lo
	v_cmp_eq_u32_e32 vcc_lo, s21, v10
	s_wait_alu 0xf1ff
	s_delay_alu instid0(VALU_DEP_2)
	v_cndmask_b32_e64 v7, v15, v7, s2
	s_wait_alu 0xfffd
	v_cndmask_b32_e32 v10, v14, v13, vcc_lo
	v_add_co_u32 v13, vcc_lo, v4, 1
	s_wait_alu 0xfffd
	v_add_co_ci_u32_e32 v14, vcc_lo, 0, v9, vcc_lo
	s_delay_alu instid0(VALU_DEP_3) | instskip(SKIP_2) | instid1(VALU_DEP_3)
	v_cmp_ne_u32_e32 vcc_lo, 0, v10
	s_wait_alu 0xfffd
	v_cndmask_b32_e32 v10, v13, v11, vcc_lo
	v_cndmask_b32_e32 v8, v14, v12, vcc_lo
	v_cmp_ne_u32_e32 vcc_lo, 0, v7
	s_wait_alu 0xfffd
	s_delay_alu instid0(VALU_DEP_2)
	v_dual_cndmask_b32 v7, v4, v10 :: v_dual_cndmask_b32 v8, v9, v8
.LBB0_4:                                ;   in Loop: Header=BB0_2 Depth=1
	s_wait_alu 0xfffe
	s_and_not1_saveexec_b32 s2, s22
	s_cbranch_execz .LBB0_6
; %bb.5:                                ;   in Loop: Header=BB0_2 Depth=1
	v_cvt_f32_u32_e32 v4, s20
	s_sub_co_i32 s22, 0, s20
	s_delay_alu instid0(VALU_DEP_1) | instskip(NEXT) | instid1(TRANS32_DEP_1)
	v_rcp_iflag_f32_e32 v4, v4
	v_mul_f32_e32 v4, 0x4f7ffffe, v4
	s_delay_alu instid0(VALU_DEP_1) | instskip(SKIP_1) | instid1(VALU_DEP_1)
	v_cvt_u32_f32_e32 v4, v4
	s_wait_alu 0xfffe
	v_mul_lo_u32 v7, s22, v4
	s_delay_alu instid0(VALU_DEP_1) | instskip(NEXT) | instid1(VALU_DEP_1)
	v_mul_hi_u32 v7, v4, v7
	v_add_nc_u32_e32 v4, v4, v7
	s_delay_alu instid0(VALU_DEP_1) | instskip(NEXT) | instid1(VALU_DEP_1)
	v_mul_hi_u32 v4, v5, v4
	v_mul_lo_u32 v7, v4, s20
	v_add_nc_u32_e32 v8, 1, v4
	s_delay_alu instid0(VALU_DEP_2) | instskip(NEXT) | instid1(VALU_DEP_1)
	v_sub_nc_u32_e32 v7, v5, v7
	v_subrev_nc_u32_e32 v9, s20, v7
	v_cmp_le_u32_e32 vcc_lo, s20, v7
	s_wait_alu 0xfffd
	s_delay_alu instid0(VALU_DEP_2) | instskip(NEXT) | instid1(VALU_DEP_1)
	v_dual_cndmask_b32 v7, v7, v9 :: v_dual_cndmask_b32 v4, v4, v8
	v_cmp_le_u32_e32 vcc_lo, s20, v7
	s_delay_alu instid0(VALU_DEP_2) | instskip(SKIP_1) | instid1(VALU_DEP_1)
	v_add_nc_u32_e32 v8, 1, v4
	s_wait_alu 0xfffd
	v_dual_cndmask_b32 v7, v4, v8 :: v_dual_mov_b32 v8, v3
.LBB0_6:                                ;   in Loop: Header=BB0_2 Depth=1
	s_wait_alu 0xfffe
	s_or_b32 exec_lo, exec_lo, s2
	s_load_b64 s[22:23], s[14:15], 0x0
	s_delay_alu instid0(VALU_DEP_1)
	v_mul_lo_u32 v4, v8, s20
	v_mul_lo_u32 v11, v7, s21
	v_mad_co_u64_u32 v[9:10], null, v7, s20, 0
	s_add_nc_u64 s[16:17], s[16:17], 1
	s_add_nc_u64 s[14:15], s[14:15], 8
	s_wait_alu 0xfffe
	v_cmp_ge_u64_e64 s2, s[16:17], s[6:7]
	s_add_nc_u64 s[18:19], s[18:19], 8
	s_delay_alu instid0(VALU_DEP_2) | instskip(NEXT) | instid1(VALU_DEP_3)
	v_add3_u32 v4, v10, v11, v4
	v_sub_co_u32 v5, vcc_lo, v5, v9
	s_wait_alu 0xfffd
	s_delay_alu instid0(VALU_DEP_2) | instskip(SKIP_3) | instid1(VALU_DEP_2)
	v_sub_co_ci_u32_e32 v4, vcc_lo, v6, v4, vcc_lo
	s_and_b32 vcc_lo, exec_lo, s2
	s_wait_kmcnt 0x0
	v_mul_lo_u32 v6, s23, v5
	v_mul_lo_u32 v4, s22, v4
	v_mad_co_u64_u32 v[1:2], null, s22, v5, v[1:2]
	s_delay_alu instid0(VALU_DEP_1)
	v_add3_u32 v2, v6, v2, v4
	s_wait_alu 0xfffe
	s_cbranch_vccnz .LBB0_9
; %bb.7:                                ;   in Loop: Header=BB0_2 Depth=1
	v_dual_mov_b32 v5, v7 :: v_dual_mov_b32 v6, v8
	s_branch .LBB0_2
.LBB0_8:
	v_dual_mov_b32 v8, v6 :: v_dual_mov_b32 v7, v5
.LBB0_9:
	s_lshl_b64 s[2:3], s[6:7], 3
	v_mul_hi_u32 v3, 0x4a7904b, v0
	s_wait_alu 0xfffe
	s_add_nc_u64 s[2:3], s[12:13], s[2:3]
                                        ; implicit-def: $vgpr102
	s_load_b64 s[2:3], s[2:3], 0x0
	s_load_b64 s[0:1], s[0:1], 0x20
	s_delay_alu instid0(VALU_DEP_1) | instskip(NEXT) | instid1(VALU_DEP_1)
	v_mul_u32_u24_e32 v3, 55, v3
	v_sub_nc_u32_e32 v99, v0, v3
	s_delay_alu instid0(VALU_DEP_1)
	v_add_nc_u32_e32 v100, 55, v99
	s_wait_kmcnt 0x0
	v_mul_lo_u32 v4, s2, v8
	v_mul_lo_u32 v5, s3, v7
	v_mad_co_u64_u32 v[1:2], null, s2, v7, v[1:2]
	v_cmp_gt_u64_e32 vcc_lo, s[0:1], v[7:8]
	v_cmp_le_u64_e64 s0, s[0:1], v[7:8]
	s_delay_alu instid0(VALU_DEP_3) | instskip(NEXT) | instid1(VALU_DEP_2)
	v_add3_u32 v2, v5, v2, v4
	s_and_saveexec_b32 s1, s0
	s_wait_alu 0xfffe
	s_xor_b32 s0, exec_lo, s1
; %bb.10:
	v_add_nc_u32_e32 v102, 55, v99
; %bb.11:
	s_wait_alu 0xfffe
	s_or_saveexec_b32 s1, s0
	v_lshlrev_b64_e32 v[84:85], 4, v[1:2]
	v_lshl_add_u32 v86, v99, 4, 0
	v_add_nc_u32_e32 v101, 0x6e, v99
	v_add_nc_u32_e32 v98, 0xa5, v99
	;; [unrolled: 1-line block ×13, first 2 shown]
	s_wait_alu 0xfffe
	s_xor_b32 exec_lo, exec_lo, s1
	s_cbranch_execz .LBB0_13
; %bb.12:
	v_mad_co_u64_u32 v[0:1], null, s8, v99, 0
	v_mad_co_u64_u32 v[2:3], null, s8, v100, 0
	;; [unrolled: 1-line block ×5, first 2 shown]
	s_delay_alu instid0(VALU_DEP_4) | instskip(SKIP_4) | instid1(VALU_DEP_4)
	v_mad_co_u64_u32 v[4:5], null, s9, v99, v[1:2]
	v_mad_co_u64_u32 v[24:25], null, s8, v95, 0
	v_add_co_u32 v56, s0, s10, v84
	s_wait_alu 0xf1ff
	v_add_co_ci_u32_e64 v57, s0, s11, v85, s0
	v_mad_co_u64_u32 v[5:6], null, s9, v100, v[3:4]
	v_dual_mov_b32 v1, v4 :: v_dual_mov_b32 v4, v9
	v_mad_co_u64_u32 v[14:15], null, s8, v97, 0
	v_mad_co_u64_u32 v[40:41], null, s8, v91, 0
	s_delay_alu instid0(VALU_DEP_4) | instskip(SKIP_3) | instid1(VALU_DEP_4)
	v_mov_b32_e32 v3, v5
	v_mov_b32_e32 v5, v11
	v_lshlrev_b64_e32 v[0:1], 4, v[0:1]
	v_mad_co_u64_u32 v[32:33], null, s8, v93, 0
	v_lshlrev_b64_e32 v[2:3], 4, v[2:3]
	s_delay_alu instid0(VALU_DEP_4) | instskip(NEXT) | instid1(VALU_DEP_4)
	v_mad_co_u64_u32 v[6:7], null, s9, v101, v[4:5]
	v_add_co_u32 v0, s0, v56, v0
	s_wait_alu 0xf1ff
	v_add_co_ci_u32_e64 v1, s0, v57, v1, s0
	s_delay_alu instid0(VALU_DEP_4) | instskip(SKIP_4) | instid1(VALU_DEP_4)
	v_add_co_u32 v16, s0, v56, v2
	v_mov_b32_e32 v2, v13
	v_mad_co_u64_u32 v[18:19], null, s9, v98, v[5:6]
	v_mov_b32_e32 v9, v6
	v_dual_mov_b32 v13, v15 :: v_dual_mov_b32 v38, v41
	v_mad_co_u64_u32 v[19:20], null, s9, v96, v[2:3]
	s_wait_alu 0xf1ff
	v_add_co_ci_u32_e64 v17, s0, v57, v3, s0
	v_mad_co_u64_u32 v[42:43], null, s8, v90, 0
	v_mov_b32_e32 v11, v18
	v_lshlrev_b64_e32 v[8:9], 4, v[8:9]
	s_clause 0x1
	global_load_b128 v[0:3], v[0:1], off
	global_load_b128 v[4:7], v[16:17], off
	v_mad_co_u64_u32 v[15:16], null, s9, v97, v[13:14]
	v_mov_b32_e32 v13, v19
	v_lshlrev_b64_e32 v[10:11], 4, v[10:11]
	v_add_co_u32 v8, s0, v56, v8
	v_mad_co_u64_u32 v[26:27], null, s8, v94, 0
	s_delay_alu instid0(VALU_DEP_4)
	v_lshlrev_b64_e32 v[12:13], 4, v[12:13]
	s_wait_alu 0xf1ff
	v_add_co_ci_u32_e64 v9, s0, v57, v9, s0
	v_add_co_u32 v16, s0, v56, v10
	s_wait_alu 0xf1ff
	v_add_co_ci_u32_e64 v17, s0, v57, v11, s0
	v_add_co_u32 v18, s0, v56, v12
	v_mad_co_u64_u32 v[34:35], null, s8, v92, 0
	s_wait_alu 0xf1ff
	v_add_co_ci_u32_e64 v19, s0, v57, v13, s0
	v_dual_mov_b32 v13, v27 :: v_dual_mov_b32 v102, v100
	v_mov_b32_e32 v12, v25
	v_lshlrev_b64_e32 v[10:11], 4, v[14:15]
	v_mov_b32_e32 v29, v35
	s_delay_alu instid0(VALU_DEP_4) | instskip(SKIP_3) | instid1(VALU_DEP_3)
	v_mad_co_u64_u32 v[27:28], null, s9, v94, v[13:14]
	v_mov_b32_e32 v28, v33
	v_mad_co_u64_u32 v[22:23], null, s9, v95, v[12:13]
	v_add_co_u32 v20, s0, v56, v10
	v_mad_co_u64_u32 v[30:31], null, s9, v93, v[28:29]
	v_lshlrev_b64_e32 v[26:27], 4, v[26:27]
	s_wait_alu 0xf1ff
	v_add_co_ci_u32_e64 v21, s0, v57, v11, s0
	v_mov_b32_e32 v25, v22
	v_mad_co_u64_u32 v[44:45], null, s8, v89, 0
	v_mad_co_u64_u32 v[28:29], null, s9, v92, v[29:30]
	s_delay_alu instid0(VALU_DEP_3)
	v_lshlrev_b64_e32 v[24:25], 4, v[24:25]
	v_mov_b32_e32 v33, v30
	s_clause 0x3
	global_load_b128 v[8:11], v[8:9], off
	global_load_b128 v[12:15], v[16:17], off
	;; [unrolled: 1-line block ×4, first 2 shown]
	v_mad_co_u64_u32 v[46:47], null, s8, v88, 0
	v_mov_b32_e32 v35, v28
	v_add_co_u32 v24, s0, v56, v24
	v_lshlrev_b64_e32 v[32:33], 4, v[32:33]
	s_wait_alu 0xf1ff
	v_add_co_ci_u32_e64 v25, s0, v57, v25, s0
	v_add_co_u32 v36, s0, v56, v26
	v_lshlrev_b64_e32 v[34:35], 4, v[34:35]
	s_wait_alu 0xf1ff
	v_add_co_ci_u32_e64 v37, s0, v57, v27, s0
	v_add_co_u32 v32, s0, v56, v32
	s_clause 0x1
	global_load_b128 v[24:27], v[24:25], off
	global_load_b128 v[28:31], v[36:37], off
	v_mad_co_u64_u32 v[36:37], null, s9, v91, v[38:39]
	s_wait_alu 0xf1ff
	v_add_co_ci_u32_e64 v33, s0, v57, v33, s0
	v_add_co_u32 v37, s0, v56, v34
	s_wait_alu 0xf1ff
	v_add_co_ci_u32_e64 v38, s0, v57, v35, s0
	v_dual_mov_b32 v34, v43 :: v_dual_mov_b32 v35, v45
	v_mov_b32_e32 v41, v36
	s_delay_alu instid0(VALU_DEP_2) | instskip(SKIP_2) | instid1(VALU_DEP_4)
	v_mad_co_u64_u32 v[48:49], null, s9, v90, v[34:35]
	v_mad_co_u64_u32 v[49:50], null, s9, v89, v[35:36]
	;; [unrolled: 1-line block ×3, first 2 shown]
	v_lshlrev_b64_e32 v[40:41], 4, v[40:41]
	s_clause 0x1
	global_load_b128 v[32:35], v[32:33], off
	global_load_b128 v[36:39], v[37:38], off
	v_mov_b32_e32 v43, v48
	v_mad_co_u64_u32 v[47:48], null, s9, v88, v[47:48]
	v_dual_mov_b32 v45, v49 :: v_dual_mov_b32 v48, v51
	s_delay_alu instid0(VALU_DEP_3) | instskip(SKIP_1) | instid1(VALU_DEP_3)
	v_lshlrev_b64_e32 v[42:43], 4, v[42:43]
	v_add_co_u32 v40, s0, v56, v40
	v_lshlrev_b64_e32 v[44:45], 4, v[44:45]
	s_delay_alu instid0(VALU_DEP_4)
	v_mad_co_u64_u32 v[48:49], null, s9, v87, v[48:49]
	s_wait_alu 0xf1ff
	v_add_co_ci_u32_e64 v41, s0, v57, v41, s0
	v_add_co_u32 v52, s0, v56, v42
	s_wait_alu 0xf1ff
	v_add_co_ci_u32_e64 v53, s0, v57, v43, s0
	s_delay_alu instid0(VALU_DEP_4)
	v_mov_b32_e32 v51, v48
	v_lshlrev_b64_e32 v[42:43], 4, v[46:47]
	v_add_co_u32 v48, s0, v56, v44
	s_wait_alu 0xf1ff
	v_add_co_ci_u32_e64 v49, s0, v57, v45, s0
	v_lshlrev_b64_e32 v[44:45], 4, v[50:51]
	s_delay_alu instid0(VALU_DEP_4) | instskip(SKIP_2) | instid1(VALU_DEP_3)
	v_add_co_u32 v54, s0, v56, v42
	s_wait_alu 0xf1ff
	v_add_co_ci_u32_e64 v55, s0, v57, v43, s0
	v_add_co_u32 v56, s0, v56, v44
	s_wait_alu 0xf1ff
	v_add_co_ci_u32_e64 v57, s0, v57, v45, s0
	s_clause 0x4
	global_load_b128 v[40:43], v[40:41], off
	global_load_b128 v[44:47], v[52:53], off
	;; [unrolled: 1-line block ×5, first 2 shown]
	s_wait_loadcnt 0xe
	ds_store_b128 v86, v[0:3]
	s_wait_loadcnt 0xd
	ds_store_b128 v86, v[4:7] offset:880
	s_wait_loadcnt 0xc
	ds_store_b128 v86, v[8:11] offset:1760
	s_wait_loadcnt 0xb
	ds_store_b128 v86, v[12:15] offset:2640
	s_wait_loadcnt 0xa
	ds_store_b128 v86, v[16:19] offset:3520
	s_wait_loadcnt 0x9
	ds_store_b128 v86, v[20:23] offset:4400
	s_wait_loadcnt 0x8
	ds_store_b128 v86, v[24:27] offset:5280
	s_wait_loadcnt 0x7
	ds_store_b128 v86, v[28:31] offset:6160
	s_wait_loadcnt 0x6
	ds_store_b128 v86, v[32:35] offset:7040
	s_wait_loadcnt 0x5
	ds_store_b128 v86, v[36:39] offset:7920
	s_wait_loadcnt 0x4
	ds_store_b128 v86, v[40:43] offset:8800
	s_wait_loadcnt 0x3
	ds_store_b128 v86, v[44:47] offset:9680
	s_wait_loadcnt 0x2
	ds_store_b128 v86, v[48:51] offset:10560
	s_wait_loadcnt 0x1
	ds_store_b128 v86, v[52:55] offset:11440
	s_wait_loadcnt 0x0
	ds_store_b128 v86, v[56:59] offset:12320
.LBB0_13:
	s_or_b32 exec_lo, exec_lo, s1
	global_wb scope:SCOPE_SE
	s_wait_dscnt 0x0
	s_barrier_signal -1
	s_barrier_wait -1
	global_inv scope:SCOPE_SE
	ds_load_b128 v[56:59], v86 offset:1200
	ds_load_b128 v[44:47], v86
	ds_load_b128 v[0:3], v86 offset:880
	ds_load_b128 v[28:31], v86 offset:2080
	;; [unrolled: 1-line block ×20, first 2 shown]
	s_mov_b32 s6, 0xf8bb580b
	s_mov_b32 s16, 0x8eee2c13
	;; [unrolled: 1-line block ×13, first 2 shown]
	s_wait_dscnt 0x6
	v_add_f64_e64 v[123:124], v[70:71], -v[105:106]
	v_add_f64_e64 v[125:126], v[68:69], -v[103:104]
	v_add_f64_e64 v[111:112], v[58:59], -v[62:63]
	v_add_f64_e32 v[107:108], v[44:45], v[56:57]
	v_add_f64_e32 v[109:110], v[46:47], v[58:59]
	v_add_f64_e64 v[113:114], v[56:57], -v[60:61]
	s_wait_dscnt 0x2
	v_add_f64_e64 v[115:116], v[78:79], -v[66:67]
	v_add_f64_e64 v[117:118], v[76:77], -v[64:65]
	v_add_f64_e32 v[56:57], v[56:57], v[60:61]
	v_add_f64_e32 v[58:59], v[58:59], v[62:63]
	v_add_f64_e64 v[119:120], v[82:83], -v[74:75]
	v_add_f64_e64 v[121:122], v[80:81], -v[72:73]
	v_add_f64_e32 v[131:132], v[68:69], v[103:104]
	v_add_f64_e32 v[133:134], v[70:71], v[105:106]
	s_mov_b32 s23, 0x3fda9628
	s_mov_b32 s26, 0x640f44db
	;; [unrolled: 1-line block ×8, first 2 shown]
	s_wait_alu 0xfffe
	s_mov_b32 s28, s2
	s_mov_b32 s35, 0x3fefac9e
	;; [unrolled: 1-line block ×5, first 2 shown]
	v_add_f64_e64 v[127:128], v[54:55], -v[50:51]
	v_add_f64_e64 v[129:130], v[52:53], -v[48:49]
	v_add_f64_e32 v[135:136], v[52:53], v[48:49]
	v_add_f64_e32 v[137:138], v[54:55], v[50:51]
	s_mov_b32 s37, 0x3fed1bb4
	s_mov_b32 s36, s16
	s_mov_b32 s33, exec_lo
	global_wb scope:SCOPE_SE
	s_wait_dscnt 0x0
	s_barrier_signal -1
	s_barrier_wait -1
	global_inv scope:SCOPE_SE
	v_mul_f64_e32 v[163:164], s[12:13], v[123:124]
	v_mul_f64_e32 v[165:166], s[12:13], v[125:126]
	;; [unrolled: 1-line block ×3, first 2 shown]
	v_add_f64_e32 v[107:108], v[107:108], v[76:77]
	v_add_f64_e32 v[109:110], v[109:110], v[78:79]
	v_mul_f64_e32 v[141:142], s[16:17], v[111:112]
	v_mul_f64_e32 v[149:150], s[16:17], v[113:114]
	;; [unrolled: 1-line block ×9, first 2 shown]
	v_add_f64_e32 v[76:77], v[76:77], v[64:65]
	v_add_f64_e32 v[78:79], v[78:79], v[66:67]
	v_mul_f64_e32 v[155:156], s[16:17], v[115:116]
	v_mul_f64_e32 v[171:172], s[12:13], v[115:116]
	;; [unrolled: 1-line block ×3, first 2 shown]
	s_wait_alu 0xfffe
	v_mul_f64_e32 v[175:176], s[28:29], v[119:120]
	v_mul_f64_e32 v[177:178], s[28:29], v[121:122]
	;; [unrolled: 1-line block ×15, first 2 shown]
	v_fma_f64 v[191:192], v[56:57], s[14:15], -v[139:140]
	v_add_f64_e32 v[107:108], v[107:108], v[80:81]
	v_add_f64_e32 v[109:110], v[109:110], v[82:83]
	v_fma_f64 v[193:194], v[56:57], s[22:23], -v[141:142]
	v_fma_f64 v[201:202], v[58:59], s[22:23], v[149:150]
	v_add_f64_e32 v[80:81], v[80:81], v[72:73]
	v_add_f64_e32 v[82:83], v[82:83], v[74:75]
	v_fma_f64 v[139:140], v[56:57], s[14:15], v[139:140]
	v_fma_f64 v[141:142], v[56:57], s[22:23], v[141:142]
	v_fma_f64 v[195:196], v[56:57], s[26:27], -v[143:144]
	v_fma_f64 v[143:144], v[56:57], s[26:27], v[143:144]
	v_fma_f64 v[199:200], v[56:57], s[20:21], -v[145:146]
	v_fma_f64 v[145:146], v[56:57], s[20:21], v[145:146]
	v_fma_f64 v[203:204], v[56:57], s[18:19], -v[111:112]
	v_fma_f64 v[56:57], v[56:57], s[18:19], v[111:112]
	v_fma_f64 v[111:112], v[58:59], s[26:27], v[151:152]
	v_fma_f64 v[149:150], v[58:59], s[22:23], -v[149:150]
	v_fma_f64 v[205:206], v[58:59], s[20:21], v[153:154]
	v_fma_f64 v[197:198], v[58:59], s[14:15], v[147:148]
	v_fma_f64 v[147:148], v[58:59], s[14:15], -v[147:148]
	v_fma_f64 v[151:152], v[58:59], s[26:27], -v[151:152]
	;; [unrolled: 1-line block ×3, first 2 shown]
	v_fma_f64 v[207:208], v[58:59], s[18:19], v[113:114]
	v_fma_f64 v[58:59], v[58:59], s[18:19], -v[113:114]
	v_fma_f64 v[113:114], v[76:77], s[22:23], -v[155:156]
	;; [unrolled: 1-line block ×3, first 2 shown]
	v_fma_f64 v[217:218], v[78:79], s[20:21], v[173:174]
	v_fma_f64 v[221:222], v[78:79], s[18:19], v[181:182]
	v_fma_f64 v[181:182], v[78:79], s[18:19], -v[181:182]
	v_fma_f64 v[209:210], v[78:79], s[22:23], v[157:158]
	v_add_f64_e32 v[191:192], v[44:45], v[191:192]
	v_add_f64_e32 v[68:69], v[107:108], v[68:69]
	;; [unrolled: 1-line block ×3, first 2 shown]
	v_mul_f64_e32 v[109:110], s[34:35], v[115:116]
	v_mul_f64_e32 v[115:116], s[30:31], v[115:116]
	;; [unrolled: 1-line block ×4, first 2 shown]
	v_add_f64_e32 v[193:194], v[44:45], v[193:194]
	v_add_f64_e32 v[201:202], v[46:47], v[201:202]
	v_fma_f64 v[219:220], v[80:81], s[18:19], -v[175:176]
	v_add_f64_e32 v[141:142], v[44:45], v[141:142]
	v_add_f64_e32 v[195:196], v[44:45], v[195:196]
	;; [unrolled: 1-line block ×11, first 2 shown]
	v_fma_f64 v[56:57], v[78:79], s[26:27], v[185:186]
	v_add_f64_e32 v[197:198], v[46:47], v[197:198]
	v_add_f64_e32 v[147:148], v[46:47], v[147:148]
	;; [unrolled: 1-line block ×6, first 2 shown]
	v_fma_f64 v[58:59], v[80:81], s[14:15], -v[187:188]
	v_fma_f64 v[211:212], v[80:81], s[26:27], -v[159:160]
	v_fma_f64 v[213:214], v[82:83], s[26:27], v[161:162]
	v_fma_f64 v[223:224], v[80:81], s[22:23], -v[183:184]
	v_fma_f64 v[183:184], v[80:81], s[22:23], v[183:184]
	v_add_f64_e32 v[113:114], v[113:114], v[191:192]
	v_add_f64_e32 v[52:53], v[68:69], v[52:53]
	;; [unrolled: 1-line block ×3, first 2 shown]
	v_fma_f64 v[68:69], v[82:83], s[18:19], v[177:178]
	v_fma_f64 v[70:71], v[76:77], s[20:21], v[171:172]
	v_fma_f64 v[171:172], v[78:79], s[20:21], -v[173:174]
	v_fma_f64 v[173:174], v[80:81], s[18:19], v[175:176]
	v_fma_f64 v[175:176], v[82:83], s[18:19], -v[177:178]
	v_fma_f64 v[177:178], v[76:77], s[18:19], -v[179:180]
	v_fma_f64 v[179:180], v[76:77], s[18:19], v[179:180]
	v_fma_f64 v[227:228], v[76:77], s[26:27], -v[109:110]
	v_fma_f64 v[225:226], v[82:83], s[22:23], v[107:108]
	v_fma_f64 v[107:108], v[82:83], s[22:23], -v[107:108]
	v_mul_f64_e32 v[191:192], s[34:35], v[125:126]
	v_add_f64_e32 v[193:194], v[215:216], v[193:194]
	v_add_f64_e32 v[201:202], v[217:218], v[201:202]
	v_mul_f64_e32 v[215:216], s[6:7], v[123:124]
	v_mul_f64_e32 v[217:218], s[6:7], v[125:126]
	v_add_f64_e32 v[111:112], v[221:222], v[111:112]
	v_mul_f64_e32 v[221:222], s[12:13], v[127:128]
	v_add_f64_e32 v[56:57], v[56:57], v[205:206]
	v_add_f64_e32 v[197:198], v[209:210], v[197:198]
	v_mul_f64_e32 v[209:210], s[30:31], v[127:128]
	v_add_f64_e32 v[151:152], v[181:182], v[151:152]
	v_mul_f64_e32 v[205:206], s[36:37], v[129:130]
	v_add_f64_e32 v[113:114], v[211:212], v[113:114]
	v_add_f64_e32 v[48:49], v[52:53], v[48:49]
	v_add_f64_e32 v[50:51], v[54:55], v[50:51]
	v_fma_f64 v[52:53], v[82:83], s[14:15], v[189:190]
	v_fma_f64 v[54:55], v[76:77], s[26:27], v[109:110]
	v_fma_f64 v[109:110], v[78:79], s[26:27], -v[185:186]
	v_fma_f64 v[185:186], v[80:81], s[14:15], v[187:188]
	v_fma_f64 v[187:188], v[82:83], s[14:15], -v[189:190]
	v_fma_f64 v[189:190], v[76:77], s[14:15], -v[115:116]
	v_fma_f64 v[115:116], v[76:77], s[14:15], v[115:116]
	v_fma_f64 v[76:77], v[76:77], s[22:23], v[155:156]
	;; [unrolled: 1-line block ×3, first 2 shown]
	v_fma_f64 v[117:118], v[78:79], s[14:15], -v[117:118]
	v_fma_f64 v[78:79], v[78:79], s[22:23], -v[157:158]
	;; [unrolled: 1-line block ×3, first 2 shown]
	v_fma_f64 v[119:120], v[80:81], s[20:21], v[119:120]
	v_fma_f64 v[80:81], v[80:81], s[26:27], v[159:160]
	v_fma_f64 v[159:160], v[82:83], s[20:21], v[121:122]
	v_fma_f64 v[121:122], v[82:83], s[20:21], -v[121:122]
	v_fma_f64 v[82:83], v[82:83], s[26:27], -v[161:162]
	v_mul_f64_e32 v[161:162], s[34:35], v[123:124]
	v_add_f64_e32 v[70:71], v[70:71], v[141:142]
	v_add_f64_e32 v[177:178], v[177:178], v[195:196]
	v_mul_f64_e32 v[141:142], s[2:3], v[123:124]
	v_add_f64_e32 v[149:150], v[171:172], v[149:150]
	v_mul_f64_e32 v[171:172], s[2:3], v[125:126]
	v_add_f64_e32 v[143:144], v[179:180], v[143:144]
	v_add_f64_e32 v[199:200], v[227:228], v[199:200]
	v_mul_f64_e32 v[123:124], s[36:37], v[123:124]
	v_mul_f64_e32 v[125:126], s[36:37], v[125:126]
	;; [unrolled: 1-line block ×3, first 2 shown]
	v_add_f64_e32 v[193:194], v[219:220], v[193:194]
	v_add_f64_e32 v[68:69], v[68:69], v[201:202]
	v_mul_f64_e32 v[179:180], s[12:13], v[129:130]
	v_add_f64_e32 v[111:112], v[225:226], v[111:112]
	v_mul_f64_e32 v[227:228], s[36:37], v[127:128]
	v_mul_f64_e32 v[127:128], s[24:25], v[127:128]
	;; [unrolled: 1-line block ×3, first 2 shown]
	v_add_f64_e32 v[107:108], v[107:108], v[151:152]
	v_add_f64_e32 v[48:49], v[48:49], v[103:104]
	;; [unrolled: 1-line block ×3, first 2 shown]
	v_fma_f64 v[103:104], v[131:132], s[14:15], -v[215:216]
	v_add_f64_e32 v[54:55], v[54:55], v[145:146]
	v_add_f64_e32 v[109:110], v[109:110], v[153:154]
	v_fma_f64 v[105:106], v[133:134], s[14:15], v[217:218]
	v_add_f64_e32 v[52:53], v[52:53], v[56:57]
	v_add_f64_e32 v[189:190], v[189:190], v[203:204]
	v_add_f64_e32 v[44:45], v[115:116], v[44:45]
	v_add_f64_e32 v[76:77], v[76:77], v[139:140]
	v_add_f64_e32 v[155:156], v[155:156], v[207:208]
	v_add_f64_e32 v[46:47], v[117:118], v[46:47]
	v_add_f64_e32 v[78:79], v[78:79], v[147:148]
	v_fma_f64 v[117:118], v[133:134], s[26:27], v[191:192]
	v_fma_f64 v[139:140], v[131:132], s[14:15], v[215:216]
	v_fma_f64 v[145:146], v[131:132], s[20:21], -v[163:164]
	v_fma_f64 v[191:192], v[133:134], s[26:27], -v[191:192]
	;; [unrolled: 1-line block ×3, first 2 shown]
	v_fma_f64 v[153:154], v[133:134], s[20:21], v[165:166]
	v_fma_f64 v[115:116], v[131:132], s[26:27], -v[161:162]
	v_add_f64_e32 v[70:71], v[173:174], v[70:71]
	v_add_f64_e32 v[173:174], v[223:224], v[177:178]
	v_fma_f64 v[181:182], v[131:132], s[18:19], -v[141:142]
	v_fma_f64 v[161:162], v[131:132], s[26:27], v[161:162]
	v_fma_f64 v[215:216], v[133:134], s[18:19], v[171:172]
	v_add_f64_e32 v[143:144], v[183:184], v[143:144]
	v_add_f64_e32 v[58:59], v[58:59], v[199:200]
	v_fma_f64 v[141:142], v[131:132], s[18:19], v[141:142]
	v_fma_f64 v[217:218], v[131:132], s[22:23], -v[123:124]
	v_fma_f64 v[123:124], v[131:132], s[22:23], v[123:124]
	v_fma_f64 v[131:132], v[131:132], s[20:21], v[163:164]
	;; [unrolled: 1-line block ×3, first 2 shown]
	v_add_f64_e32 v[149:150], v[175:176], v[149:150]
	v_fma_f64 v[125:126], v[133:134], s[22:23], -v[125:126]
	v_fma_f64 v[171:172], v[133:134], s[18:19], -v[171:172]
	v_add_f64_e32 v[197:198], v[213:214], v[197:198]
	v_fma_f64 v[133:134], v[133:134], s[20:21], -v[165:166]
	v_fma_f64 v[165:166], v[135:136], s[14:15], -v[209:210]
	v_add_f64_e32 v[48:49], v[48:49], v[72:73]
	v_add_f64_e32 v[50:51], v[50:51], v[74:75]
	v_fma_f64 v[211:212], v[137:138], s[14:15], v[195:196]
	v_add_f64_e32 v[54:55], v[185:186], v[54:55]
	v_add_f64_e32 v[109:110], v[187:188], v[109:110]
	;; [unrolled: 1-line block ×3, first 2 shown]
	v_fma_f64 v[151:152], v[135:136], s[22:23], -v[227:228]
	v_add_f64_e32 v[56:57], v[157:158], v[189:190]
	v_add_f64_e32 v[44:45], v[119:120], v[44:45]
	;; [unrolled: 1-line block ×7, first 2 shown]
	v_fma_f64 v[80:81], v[135:136], s[20:21], -v[221:222]
	v_fma_f64 v[82:83], v[137:138], s[20:21], v[179:180]
	v_fma_f64 v[157:158], v[137:138], s[22:23], v[205:206]
	v_fma_f64 v[121:122], v[137:138], s[20:21], -v[179:180]
	v_fma_f64 v[177:178], v[135:136], s[26:27], -v[127:128]
	v_add_f64_e32 v[115:116], v[115:116], v[193:194]
	v_fma_f64 v[179:180], v[137:138], s[26:27], v[129:130]
	v_add_f64_e32 v[103:104], v[103:104], v[173:174]
	v_fma_f64 v[127:128], v[135:136], s[26:27], v[127:128]
	v_fma_f64 v[129:130], v[137:138], s[26:27], -v[129:130]
	v_fma_f64 v[76:77], v[135:136], s[14:15], v[209:210]
	v_add_f64_e32 v[111:112], v[139:140], v[143:144]
	v_add_f64_e32 v[58:59], v[181:182], v[58:59]
	v_add_f64_e32 v[139:140], v[215:216], v[52:53]
	v_fma_f64 v[78:79], v[137:138], s[14:15], -v[195:196]
	v_fma_f64 v[159:160], v[135:136], s[22:23], v[227:228]
	v_fma_f64 v[175:176], v[137:138], s[22:23], -v[205:206]
	v_add_f64_e32 v[70:71], v[161:162], v[70:71]
	v_add_f64_e32 v[117:118], v[191:192], v[149:150]
	v_fma_f64 v[119:120], v[135:136], s[20:21], v[221:222]
	v_add_f64_e32 v[107:108], v[147:148], v[107:108]
	v_add_f64_e32 v[113:114], v[145:146], v[113:114]
	;; [unrolled: 1-line block ×3, first 2 shown]
	v_fma_f64 v[203:204], v[135:136], s[18:19], -v[167:168]
	v_add_f64_e32 v[147:148], v[48:49], v[64:65]
	v_add_f64_e32 v[153:154], v[50:51], v[66:67]
	v_fma_f64 v[207:208], v[137:138], s[18:19], v[169:170]
	v_add_f64_e32 v[141:142], v[141:142], v[54:55]
	v_add_f64_e32 v[109:110], v[171:172], v[109:110]
	v_fma_f64 v[135:136], v[135:136], s[18:19], v[167:168]
	v_fma_f64 v[137:138], v[137:138], s[18:19], -v[169:170]
	v_add_f64_e32 v[143:144], v[217:218], v[56:57]
	v_add_f64_e32 v[123:124], v[123:124], v[44:45]
	;; [unrolled: 1-line block ×7, first 2 shown]
	v_mad_u32_u24 v44, 0xa0, v99, v86
	v_add_f64_e32 v[66:67], v[82:83], v[105:106]
	v_add_f64_e32 v[49:50], v[165:166], v[115:116]
	;; [unrolled: 1-line block ×21, first 2 shown]
	ds_store_b128 v44, v[49:52] offset:32
	ds_store_b128 v44, v[64:67] offset:48
	;; [unrolled: 1-line block ×8, first 2 shown]
	ds_store_b128 v44, v[57:60]
	ds_store_b128 v44, v[45:48] offset:16
	ds_store_b128 v44, v[107:110] offset:160
	v_cmpx_gt_u32_e32 20, v99
	s_cbranch_execz .LBB0_15
; %bb.14:
	v_add_f64_e32 v[45:46], v[2:3], v[30:31]
	v_add_f64_e32 v[47:48], v[0:1], v[28:29]
	;; [unrolled: 1-line block ×3, first 2 shown]
	v_add_f64_e64 v[65:66], v[38:39], -v[22:23]
	v_add_f64_e32 v[57:58], v[30:31], v[18:19]
	v_add_f64_e64 v[30:31], v[30:31], -v[18:19]
	v_add_f64_e32 v[53:54], v[26:27], v[34:35]
	v_add_f64_e64 v[63:64], v[26:27], -v[34:35]
	v_add_f64_e64 v[69:70], v[24:25], -v[32:33]
	v_add_f64_e32 v[79:80], v[24:25], v[32:33]
	v_add_f64_e64 v[73:74], v[28:29], -v[16:17]
	v_add_f64_e32 v[28:29], v[28:29], v[16:17]
	v_add_f64_e32 v[51:52], v[14:15], v[42:43]
	v_add_f64_e64 v[61:62], v[14:15], -v[42:43]
	v_add_f64_e64 v[67:68], v[12:13], -v[40:41]
	v_add_f64_e32 v[77:78], v[12:13], v[40:41]
	s_mov_b32 s1, 0x3fe82f19
	s_mov_b32 s0, s12
	v_add_f64_e64 v[71:72], v[36:37], -v[20:21]
	v_add_f64_e32 v[49:50], v[10:11], v[6:7]
	v_add_f64_e64 v[59:60], v[10:11], -v[6:7]
	v_add_f64_e32 v[75:76], v[8:9], v[4:5]
	v_add_f64_e32 v[38:39], v[45:46], v[38:39]
	;; [unrolled: 1-line block ×4, first 2 shown]
	v_mul_f64_e32 v[107:108], s[14:15], v[55:56]
	v_mul_f64_e32 v[109:110], s[18:19], v[57:58]
	;; [unrolled: 1-line block ×16, first 2 shown]
	v_add_f64_e64 v[47:48], v[8:9], -v[4:5]
	v_mul_f64_e32 v[113:114], s[36:37], v[61:62]
	v_mul_f64_e32 v[125:126], s[14:15], v[53:54]
	;; [unrolled: 1-line block ×18, first 2 shown]
	v_add_f64_e32 v[26:27], v[38:39], v[26:27]
	v_add_f64_e32 v[24:25], v[45:46], v[24:25]
	v_mul_f64_e32 v[45:46], s[20:21], v[57:58]
	v_mul_f64_e32 v[57:58], s[14:15], v[57:58]
	;; [unrolled: 1-line block ×4, first 2 shown]
	v_fma_f64 v[177:178], v[73:74], s[28:29], v[109:110]
	v_fma_f64 v[183:184], v[28:29], s[18:19], v[119:120]
	;; [unrolled: 1-line block ×3, first 2 shown]
	v_fma_f64 v[119:120], v[28:29], s[18:19], -v[119:120]
	v_fma_f64 v[189:190], v[28:29], s[20:21], v[135:136]
	v_fma_f64 v[135:136], v[28:29], s[20:21], -v[135:136]
	v_fma_f64 v[191:192], v[73:74], s[34:35], v[141:142]
	v_fma_f64 v[141:142], v[73:74], s[24:25], v[141:142]
	;; [unrolled: 1-line block ×5, first 2 shown]
	v_fma_f64 v[151:152], v[28:29], s[22:23], -v[151:152]
	v_fma_f64 v[193:194], v[28:29], s[26:27], v[143:144]
	v_fma_f64 v[143:144], v[28:29], s[26:27], -v[143:144]
	v_fma_f64 v[201:202], v[28:29], s[14:15], v[30:31]
	;; [unrolled: 2-line block ×4, first 2 shown]
	v_fma_f64 v[207:208], v[36:37], s[18:19], v[157:158]
	v_fma_f64 v[157:158], v[36:37], s[18:19], -v[157:158]
	s_wait_alu 0xfffe
	v_fma_f64 v[209:210], v[71:72], s[0:1], v[161:162]
	v_fma_f64 v[161:162], v[71:72], s[12:13], v[161:162]
	v_fma_f64 v[211:212], v[36:37], s[20:21], -v[165:166]
	v_fma_f64 v[165:166], v[36:37], s[20:21], v[165:166]
	v_fma_f64 v[185:186], v[69:70], s[30:31], v[125:126]
	;; [unrolled: 1-line block ×5, first 2 shown]
	v_fma_f64 v[155:156], v[79:80], s[22:23], -v[155:156]
	v_mul_f64_e32 v[51:52], s[20:21], v[51:52]
	v_fma_f64 v[115:116], v[79:80], s[20:21], -v[115:116]
	v_add_f64_e32 v[14:15], v[26:27], v[14:15]
	v_add_f64_e32 v[12:13], v[24:25], v[12:13]
	v_fma_f64 v[187:188], v[73:74], s[0:1], v[45:46]
	v_fma_f64 v[45:46], v[73:74], s[12:13], v[45:46]
	;; [unrolled: 1-line block ×4, first 2 shown]
	v_mul_f64_e32 v[24:25], s[12:13], v[61:62]
	v_fma_f64 v[61:62], v[71:72], s[6:7], v[107:108]
	v_fma_f64 v[107:108], v[71:72], s[30:31], v[107:108]
	;; [unrolled: 1-line block ×6, first 2 shown]
	v_add_f64_e32 v[109:110], v[2:3], v[109:110]
	v_add_f64_e32 v[119:120], v[0:1], v[119:120]
	;; [unrolled: 1-line block ×7, first 2 shown]
	v_fma_f64 v[73:74], v[79:80], s[14:15], v[131:132]
	v_add_f64_e32 v[28:29], v[0:1], v[28:29]
	v_fma_f64 v[131:132], v[79:80], s[14:15], -v[131:132]
	v_fma_f64 v[26:27], v[69:70], s[0:1], v[105:106]
	v_fma_f64 v[105:106], v[69:70], s[12:13], v[105:106]
	v_mul_f64_e32 v[121:122], s[22:23], v[49:50]
	v_mul_f64_e32 v[127:128], s[36:37], v[59:60]
	;; [unrolled: 1-line block ×4, first 2 shown]
	v_fma_f64 v[215:216], v[77:78], s[22:23], v[113:114]
	v_fma_f64 v[113:114], v[77:78], s[22:23], -v[113:114]
	v_mul_f64_e32 v[81:82], s[26:27], v[49:50]
	v_mul_f64_e32 v[137:138], s[20:21], v[49:50]
	v_mul_f64_e32 v[153:154], s[12:13], v[59:60]
	v_mul_f64_e32 v[111:112], s[24:25], v[59:60]
	v_mul_f64_e32 v[49:50], s[18:19], v[49:50]
	v_mul_f64_e32 v[59:60], s[2:3], v[59:60]
	v_add_f64_e32 v[10:11], v[14:15], v[10:11]
	v_add_f64_e32 v[8:9], v[12:13], v[8:9]
	v_fma_f64 v[12:13], v[36:37], s[26:27], -v[133:134]
	v_fma_f64 v[133:134], v[71:72], s[2:3], v[147:148]
	v_fma_f64 v[147:148], v[71:72], s[28:29], v[147:148]
	;; [unrolled: 1-line block ×3, first 2 shown]
	v_fma_f64 v[36:37], v[36:37], s[22:23], -v[65:66]
	v_add_f64_e32 v[65:66], v[2:3], v[177:178]
	v_add_f64_e32 v[177:178], v[0:1], v[183:184]
	;; [unrolled: 1-line block ×12, first 2 shown]
	v_fma_f64 v[14:15], v[69:70], s[16:17], v[145:146]
	v_fma_f64 v[145:146], v[69:70], s[36:37], v[145:146]
	;; [unrolled: 1-line block ×3, first 2 shown]
	v_add_f64_e32 v[107:108], v[107:108], v[109:110]
	v_add_f64_e32 v[109:110], v[117:118], v[119:120]
	v_fma_f64 v[199:200], v[67:68], s[16:17], v[103:104]
	v_fma_f64 v[103:104], v[67:68], s[36:37], v[103:104]
	;; [unrolled: 1-line block ×3, first 2 shown]
	v_fma_f64 v[111:112], v[75:76], s[26:27], -v[111:112]
	v_add_f64_e32 v[6:7], v[10:11], v[6:7]
	v_add_f64_e32 v[4:5], v[8:9], v[4:5]
	v_fma_f64 v[8:9], v[69:70], s[2:3], v[159:160]
	v_fma_f64 v[159:160], v[79:80], s[18:19], -v[163:164]
	v_add_f64_e32 v[12:13], v[12:13], v[135:136]
	v_add_f64_e32 v[119:120], v[147:148], v[141:142]
	;; [unrolled: 1-line block ×12, first 2 shown]
	v_fma_f64 v[10:11], v[79:80], s[18:19], v[163:164]
	v_add_f64_e32 v[147:148], v[209:210], v[193:194]
	v_add_f64_e32 v[149:150], v[165:166], v[195:196]
	v_fma_f64 v[163:164], v[69:70], s[34:35], v[53:54]
	v_fma_f64 v[53:54], v[69:70], s[24:25], v[53:54]
	;; [unrolled: 1-line block ×3, first 2 shown]
	v_fma_f64 v[63:64], v[79:80], s[26:27], -v[63:64]
	v_add_f64_e32 v[2:3], v[55:56], v[2:3]
	v_add_f64_e32 v[28:29], v[36:37], v[28:29]
	;; [unrolled: 1-line block ×4, first 2 shown]
	v_fma_f64 v[36:37], v[67:68], s[28:29], v[123:124]
	v_fma_f64 v[55:56], v[77:78], s[18:19], -v[129:130]
	v_fma_f64 v[71:72], v[67:68], s[30:31], v[139:140]
	v_fma_f64 v[161:162], v[77:78], s[26:27], v[175:176]
	;; [unrolled: 1-line block ×8, first 2 shown]
	v_add_f64_e32 v[6:7], v[6:7], v[42:43]
	v_add_f64_e32 v[4:5], v[4:5], v[40:41]
	v_fma_f64 v[40:41], v[77:78], s[18:19], v[129:130]
	v_fma_f64 v[42:43], v[67:68], s[2:3], v[123:124]
	;; [unrolled: 1-line block ×4, first 2 shown]
	v_fma_f64 v[139:140], v[77:78], s[14:15], -v[167:168]
	v_fma_f64 v[167:168], v[77:78], s[26:27], -v[175:176]
	v_fma_f64 v[175:176], v[77:78], s[20:21], v[24:25]
	v_fma_f64 v[24:25], v[77:78], s[20:21], -v[24:25]
	v_add_f64_e32 v[30:31], v[185:186], v[30:31]
	v_add_f64_e32 v[38:39], v[125:126], v[38:39]
	;; [unrolled: 1-line block ×20, first 2 shown]
	v_fma_f64 v[63:64], v[75:76], s[22:23], -v[127:128]
	v_fma_f64 v[131:132], v[75:76], s[14:15], -v[173:174]
	v_fma_f64 v[117:118], v[47:48], s[12:13], v[137:138]
	v_fma_f64 v[119:120], v[75:76], s[20:21], -v[153:154]
	v_fma_f64 v[53:54], v[47:48], s[36:37], v[121:122]
	v_fma_f64 v[69:70], v[47:48], s[0:1], v[137:138]
	;; [unrolled: 1-line block ×4, first 2 shown]
	v_add_f64_e32 v[6:7], v[6:7], v[34:35]
	v_add_f64_e32 v[4:5], v[4:5], v[32:33]
	v_fma_f64 v[32:33], v[47:48], s[16:17], v[121:122]
	v_fma_f64 v[34:35], v[75:76], s[22:23], v[127:128]
	;; [unrolled: 1-line block ×5, first 2 shown]
	v_fma_f64 v[49:50], v[75:76], s[18:19], -v[59:60]
	v_fma_f64 v[115:116], v[75:76], s[20:21], v[153:154]
	v_fma_f64 v[125:126], v[75:76], s[14:15], v[173:174]
	v_add_f64_e32 v[30:31], v[36:37], v[30:31]
	v_add_f64_e32 v[38:39], v[42:43], v[38:39]
	;; [unrolled: 1-line block ×42, first 2 shown]
	v_mad_i32_i24 v45, 0xb0, v102, 0
	v_add_f64_e32 v[18:19], v[103:104], v[18:19]
	v_add_f64_e32 v[16:17], v[105:106], v[16:17]
	ds_store_b128 v45, v[28:31] offset:32
	ds_store_b128 v45, v[24:27] offset:48
	;; [unrolled: 1-line block ×9, first 2 shown]
	ds_store_b128 v45, v[16:19]
	ds_store_b128 v45, v[36:39] offset:160
.LBB0_15:
	s_or_b32 exec_lo, exec_lo, s33
	v_and_b32_e32 v0, 0xff, v99
	v_and_b32_e32 v1, 0xff, v102
	;; [unrolled: 1-line block ×3, first 2 shown]
	global_wb scope:SCOPE_SE
	s_wait_dscnt 0x0
	s_barrier_signal -1
	v_mul_lo_u16 v0, 0x75, v0
	v_mul_lo_u16 v1, 0x75, v1
	;; [unrolled: 1-line block ×3, first 2 shown]
	s_barrier_wait -1
	global_inv scope:SCOPE_SE
	v_lshrrev_b16 v0, 8, v0
	v_lshrrev_b16 v1, 8, v1
	;; [unrolled: 1-line block ×3, first 2 shown]
	v_mad_i32_i24 v50, 0xffffff60, v99, v44
	s_mov_b32 s12, 0x134454ff
	v_sub_nc_u16 v2, v99, v0
	v_sub_nc_u16 v4, v102, v1
	s_mov_b32 s13, 0x3fee6f0e
	s_mov_b32 s15, 0xbfee6f0e
	s_wait_alu 0xfffe
	s_mov_b32 s14, s12
	v_lshrrev_b16 v2, 1, v2
	v_lshrrev_b16 v4, 1, v4
	s_mov_b32 s2, 0x4755a5e
	s_mov_b32 s3, 0x3fe2cf23
	;; [unrolled: 1-line block ×3, first 2 shown]
	v_and_b32_e32 v2, 0x7f, v2
	v_and_b32_e32 v4, 0x7f, v4
	s_wait_alu 0xfffe
	s_mov_b32 s6, s2
	s_mov_b32 s16, 0x372fe950
	;; [unrolled: 1-line block ×3, first 2 shown]
	v_add_nc_u16 v0, v2, v0
	v_sub_nc_u16 v2, v101, v3
	v_add_nc_u16 v1, v4, v1
	v_mul_lo_u16 v83, 0x95, v20
	s_delay_alu instid0(VALU_DEP_4) | instskip(NEXT) | instid1(VALU_DEP_4)
	v_lshrrev_b16 v14, 3, v0
	v_lshrrev_b16 v0, 1, v2
	s_delay_alu instid0(VALU_DEP_4) | instskip(NEXT) | instid1(VALU_DEP_3)
	v_lshrrev_b16 v16, 3, v1
	v_mul_lo_u16 v2, v14, 11
	s_delay_alu instid0(VALU_DEP_3) | instskip(SKIP_1) | instid1(VALU_DEP_3)
	v_and_b32_e32 v0, 0x7f, v0
	v_and_b32_e32 v14, 0xffff, v14
	v_sub_nc_u16 v1, v99, v2
	s_delay_alu instid0(VALU_DEP_3)
	v_add_nc_u16 v0, v0, v3
	v_mul_lo_u16 v2, v16, 11
	v_and_b32_e32 v16, 0xffff, v16
	v_mul_u32_u24_e32 v14, 0x370, v14
	v_and_b32_e32 v15, 0xff, v1
	v_lshrrev_b16 v18, 3, v0
	v_sub_nc_u16 v0, v102, v2
	v_mul_u32_u24_e32 v16, 0x370, v16
	s_delay_alu instid0(VALU_DEP_4) | instskip(NEXT) | instid1(VALU_DEP_4)
	v_lshlrev_b32_e32 v12, 6, v15
	v_mul_lo_u16 v8, v18, 11
	s_delay_alu instid0(VALU_DEP_4)
	v_and_b32_e32 v17, 0xff, v0
	v_and_b32_e32 v18, 0xffff, v18
	v_lshlrev_b32_e32 v15, 4, v15
	s_clause 0x1
	global_load_b128 v[0:3], v12, s[4:5]
	global_load_b128 v[4:7], v12, s[4:5] offset:16
	v_sub_nc_u16 v13, v101, v8
	s_clause 0x1
	global_load_b128 v[8:11], v12, s[4:5] offset:32
	global_load_b128 v[21:24], v12, s[4:5] offset:48
	v_lshlrev_b32_e32 v37, 6, v17
	s_clause 0x2
	global_load_b128 v[25:28], v37, s[4:5]
	global_load_b128 v[29:32], v37, s[4:5] offset:16
	global_load_b128 v[33:36], v37, s[4:5] offset:32
	v_and_b32_e32 v19, 0xff, v13
	v_mul_u32_u24_e32 v18, 0x370, v18
	v_lshlrev_b32_e32 v17, 4, v17
	v_add3_u32 v14, 0, v14, v15
	s_delay_alu instid0(VALU_DEP_4)
	v_lshlrev_b32_e32 v12, 6, v19
	s_clause 0x4
	global_load_b128 v[37:40], v37, s[4:5] offset:48
	global_load_b128 v[45:48], v12, s[4:5]
	global_load_b128 v[51:54], v12, s[4:5] offset:16
	global_load_b128 v[55:58], v12, s[4:5] offset:32
	;; [unrolled: 1-line block ×3, first 2 shown]
	ds_load_b128 v[41:44], v50 offset:2640
	ds_load_b128 v[63:66], v86 offset:5280
	;; [unrolled: 1-line block ×13, first 2 shown]
	v_lshlrev_b32_e32 v19, 4, v19
	v_add3_u32 v15, 0, v16, v17
	s_delay_alu instid0(VALU_DEP_2)
	v_add3_u32 v16, 0, v18, v19
	s_wait_loadcnt_dscnt 0xb0c
	v_mul_f64_e32 v[12:13], v[43:44], v[2:3]
	v_mul_f64_e32 v[2:3], v[41:42], v[2:3]
	s_wait_loadcnt_dscnt 0xa0b
	v_mul_f64_e32 v[131:132], v[65:66], v[6:7]
	s_wait_loadcnt_dscnt 0x90a
	v_mul_f64_e32 v[133:134], v[69:70], v[10:11]
	v_mul_f64_e32 v[6:7], v[63:64], v[6:7]
	s_wait_loadcnt_dscnt 0x809
	v_mul_f64_e32 v[135:136], v[73:74], v[23:24]
	v_mul_f64_e32 v[10:11], v[67:68], v[10:11]
	;; [unrolled: 1-line block ×3, first 2 shown]
	s_wait_loadcnt_dscnt 0x708
	v_mul_f64_e32 v[137:138], v[77:78], v[27:28]
	s_wait_loadcnt_dscnt 0x607
	v_mul_f64_e32 v[139:140], v[81:82], v[31:32]
	;; [unrolled: 2-line block ×3, first 2 shown]
	v_mul_f64_e32 v[31:32], v[79:80], v[31:32]
	v_mul_f64_e32 v[35:36], v[103:104], v[35:36]
	;; [unrolled: 1-line block ×3, first 2 shown]
	s_wait_loadcnt_dscnt 0x405
	v_mul_f64_e32 v[143:144], v[109:110], v[39:40]
	v_mul_f64_e32 v[39:40], v[107:108], v[39:40]
	s_wait_loadcnt_dscnt 0x304
	v_mul_f64_e32 v[145:146], v[113:114], v[47:48]
	s_wait_loadcnt_dscnt 0x203
	;; [unrolled: 2-line block ×3, first 2 shown]
	v_mul_f64_e32 v[149:150], v[121:122], v[57:58]
	v_mul_f64_e32 v[47:48], v[111:112], v[47:48]
	s_wait_loadcnt_dscnt 0x1
	v_mul_f64_e32 v[151:152], v[125:126], v[61:62]
	v_mul_f64_e32 v[53:54], v[115:116], v[53:54]
	;; [unrolled: 1-line block ×4, first 2 shown]
	v_fma_f64 v[41:42], v[41:42], v[0:1], -v[12:13]
	v_fma_f64 v[43:44], v[43:44], v[0:1], v[2:3]
	v_fma_f64 v[63:64], v[63:64], v[4:5], -v[131:132]
	v_fma_f64 v[67:68], v[67:68], v[8:9], -v[133:134]
	v_fma_f64 v[65:66], v[65:66], v[4:5], v[6:7]
	v_fma_f64 v[0:1], v[71:72], v[21:22], -v[135:136]
	v_fma_f64 v[8:9], v[69:70], v[8:9], v[10:11]
	v_fma_f64 v[2:3], v[73:74], v[21:22], v[23:24]
	v_fma_f64 v[69:70], v[75:76], v[25:26], -v[137:138]
	v_fma_f64 v[71:72], v[79:80], v[29:30], -v[139:140]
	;; [unrolled: 1-line block ×3, first 2 shown]
	v_fma_f64 v[29:30], v[81:82], v[29:30], v[31:32]
	v_fma_f64 v[31:32], v[105:106], v[33:34], v[35:36]
	;; [unrolled: 1-line block ×3, first 2 shown]
	ds_load_b128 v[21:24], v86
	v_fma_f64 v[4:5], v[107:108], v[37:38], -v[143:144]
	v_fma_f64 v[6:7], v[109:110], v[37:38], v[39:40]
	v_fma_f64 v[33:34], v[111:112], v[45:46], -v[145:146]
	v_fma_f64 v[35:36], v[115:116], v[51:52], -v[147:148]
	;; [unrolled: 1-line block ×3, first 2 shown]
	v_fma_f64 v[39:40], v[113:114], v[45:46], v[47:48]
	v_fma_f64 v[10:11], v[123:124], v[59:60], -v[151:152]
	v_fma_f64 v[45:46], v[117:118], v[51:52], v[53:54]
	v_fma_f64 v[47:48], v[121:122], v[55:56], v[57:58]
	;; [unrolled: 1-line block ×3, first 2 shown]
	v_lshl_add_u32 v51, v102, 4, 0
	ds_load_b128 v[25:28], v51
	global_wb scope:SCOPE_SE
	s_wait_dscnt 0x0
	s_barrier_signal -1
	s_barrier_wait -1
	global_inv scope:SCOPE_SE
	v_add_f64_e32 v[54:55], v[21:22], v[41:42]
	v_add_f64_e32 v[117:118], v[23:24], v[43:44]
	v_add_f64_e64 v[81:82], v[41:42], -v[63:64]
	v_add_f64_e32 v[52:53], v[63:64], v[67:68]
	v_add_f64_e64 v[109:110], v[63:64], -v[41:42]
	v_add_f64_e32 v[56:57], v[41:42], v[0:1]
	v_add_f64_e32 v[60:61], v[65:66], v[8:9]
	;; [unrolled: 1-line block ×3, first 2 shown]
	v_add_f64_e64 v[58:59], v[43:44], -v[2:3]
	v_add_f64_e64 v[77:78], v[65:66], -v[8:9]
	v_add_f64_e32 v[103:104], v[71:72], v[73:74]
	v_add_f64_e64 v[105:106], v[0:1], -v[67:68]
	v_add_f64_e32 v[111:112], v[29:30], v[31:32]
	v_add_f64_e64 v[113:114], v[67:68], -v[0:1]
	v_add_f64_e64 v[41:42], v[41:42], -v[0:1]
	v_add_f64_e32 v[153:154], v[27:28], v[75:76]
	v_add_f64_e32 v[107:108], v[69:70], v[4:5]
	;; [unrolled: 1-line block ×4, first 2 shown]
	v_add_f64_e64 v[123:124], v[63:64], -v[67:68]
	v_add_f64_e32 v[119:120], v[35:36], v[37:38]
	v_add_f64_e32 v[159:160], v[129:130], v[39:40]
	;; [unrolled: 1-line block ×3, first 2 shown]
	v_add_f64_e64 v[133:134], v[43:44], -v[65:66]
	v_add_f64_e32 v[125:126], v[45:46], v[47:48]
	v_add_f64_e32 v[131:132], v[39:40], v[12:13]
	v_add_f64_e64 v[135:136], v[2:3], -v[8:9]
	v_add_f64_e32 v[139:140], v[25:26], v[69:70]
	v_add_f64_e64 v[141:142], v[75:76], -v[6:7]
	v_add_f64_e64 v[145:146], v[69:70], -v[71:72]
	v_add_f64_e64 v[149:150], v[71:72], -v[69:70]
	v_add_f64_e64 v[69:70], v[69:70], -v[4:5]
	v_add_f64_e64 v[43:44], v[65:66], -v[43:44]
	v_add_f64_e64 v[137:138], v[8:9], -v[2:3]
	v_add_f64_e64 v[143:144], v[29:30], -v[31:32]
	v_add_f64_e64 v[155:156], v[71:72], -v[73:74]
	v_add_f64_e64 v[163:164], v[39:40], -v[12:13]
	v_add_f64_e64 v[167:168], v[33:34], -v[10:11]
	v_add_f64_e64 v[147:148], v[4:5], -v[73:74]
	v_add_f64_e64 v[151:152], v[73:74], -v[4:5]
	v_add_f64_e64 v[161:162], v[75:76], -v[29:30]
	v_fma_f64 v[52:53], v[52:53], -0.5, v[21:22]
	v_add_f64_e64 v[75:76], v[29:30], -v[75:76]
	v_fma_f64 v[21:22], v[56:57], -0.5, v[21:22]
	v_fma_f64 v[60:61], v[60:61], -0.5, v[23:24]
	;; [unrolled: 1-line block ×3, first 2 shown]
	v_add_f64_e64 v[79:80], v[31:32], -v[6:7]
	v_add_f64_e64 v[165:166], v[33:34], -v[35:36]
	v_fma_f64 v[103:104], v[103:104], -0.5, v[25:26]
	v_add_f64_e64 v[33:34], v[35:36], -v[33:34]
	v_fma_f64 v[111:112], v[111:112], -0.5, v[27:28]
	v_add_f64_e64 v[169:170], v[39:40], -v[45:46]
	v_add_f64_e64 v[39:40], v[45:46], -v[39:40]
	;; [unrolled: 1-line block ×3, first 2 shown]
	v_fma_f64 v[25:26], v[107:108], -0.5, v[25:26]
	v_fma_f64 v[27:28], v[115:116], -0.5, v[27:28]
	v_add_f64_e64 v[107:108], v[45:46], -v[47:48]
	v_add_f64_e64 v[115:116], v[10:11], -v[37:38]
	v_fma_f64 v[119:120], v[119:120], -0.5, v[127:128]
	v_add_f64_e32 v[54:55], v[54:55], v[63:64]
	v_fma_f64 v[121:122], v[121:122], -0.5, v[127:128]
	v_add_f64_e64 v[127:128], v[35:36], -v[37:38]
	v_fma_f64 v[125:126], v[125:126], -0.5, v[129:130]
	v_fma_f64 v[129:130], v[131:132], -0.5, v[129:130]
	v_add_f64_e64 v[131:132], v[37:38], -v[10:11]
	v_add_f64_e32 v[64:65], v[117:118], v[65:66]
	v_add_f64_e32 v[62:63], v[81:82], v[105:106]
	;; [unrolled: 1-line block ×8, first 2 shown]
	v_add_f64_e64 v[56:57], v[6:7], -v[31:32]
	v_add_f64_e32 v[43:44], v[43:44], v[137:138]
	v_add_f64_e64 v[171:172], v[12:13], -v[47:48]
	v_add_f64_e32 v[145:146], v[145:146], v[147:148]
	v_add_f64_e32 v[147:148], v[149:150], v[151:152]
	v_fma_f64 v[109:110], v[58:59], s[12:13], v[52:53]
	v_fma_f64 v[52:53], v[58:59], s[14:15], v[52:53]
	;; [unrolled: 1-line block ×12, first 2 shown]
	v_add_f64_e32 v[75:76], v[75:76], v[79:80]
	v_fma_f64 v[137:138], v[143:144], s[14:15], v[25:26]
	v_fma_f64 v[153:154], v[155:156], s[12:13], v[27:28]
	;; [unrolled: 1-line block ×12, first 2 shown]
	v_add_f64_e32 v[79:80], v[165:166], v[115:116]
	v_add_f64_e32 v[115:116], v[33:34], v[131:132]
	v_add_f64_e32 v[149:150], v[39:40], v[173:174]
	v_add_f64_e32 v[33:34], v[54:55], v[67:68]
	v_add_f64_e32 v[39:40], v[64:65], v[8:9]
	v_add_f64_e32 v[29:30], v[29:30], v[31:32]
	v_add_f64_e32 v[31:32], v[35:36], v[37:38]
	v_add_f64_e32 v[35:36], v[45:46], v[47:48]
	v_add_f64_e32 v[54:55], v[71:72], v[73:74]
	v_add_f64_e32 v[56:57], v[161:162], v[56:57]
	v_add_f64_e32 v[131:132], v[169:170], v[171:172]
	v_dual_mov_b32 v9, 0 :: v_dual_lshlrev_b32 v8, 2, v99
	v_fma_f64 v[37:38], v[77:78], s[2:3], v[109:110]
	s_wait_alu 0xfffe
	v_fma_f64 v[45:46], v[77:78], s[6:7], v[52:53]
	v_fma_f64 v[47:48], v[58:59], s[2:3], v[113:114]
	;; [unrolled: 1-line block ×23, first 2 shown]
	v_add_f64_e32 v[0:1], v[33:34], v[0:1]
	v_add_f64_e32 v[2:3], v[39:40], v[2:3]
	;; [unrolled: 1-line block ×6, first 2 shown]
	v_fma_f64 v[20:21], v[62:63], s[16:17], v[37:38]
	v_fma_f64 v[24:25], v[62:63], s[16:17], v[45:46]
	;; [unrolled: 1-line block ×12, first 2 shown]
	v_lshlrev_b64_e32 v[48:49], 4, v[8:9]
	v_fma_f64 v[44:45], v[147:148], s[16:17], v[73:74]
	v_fma_f64 v[46:47], v[75:76], s[16:17], v[111:112]
	;; [unrolled: 1-line block ×12, first 2 shown]
	v_lshrrev_b16 v8, 13, v83
	v_add_co_u32 v48, s0, s4, v48
	s_wait_alu 0xf1ff
	v_add_co_ci_u32_e64 v49, s0, s5, v49, s0
	s_delay_alu instid0(VALU_DEP_3)
	v_mul_lo_u16 v8, v8, 55
	ds_store_b128 v14, v[0:3]
	ds_store_b128 v14, v[20:23] offset:176
	ds_store_b128 v14, v[28:31] offset:352
	ds_store_b128 v14, v[32:35] offset:528
	ds_store_b128 v14, v[24:27] offset:704
	ds_store_b128 v15, v[4:7]
	ds_store_b128 v15, v[36:39] offset:176
	ds_store_b128 v15, v[44:47] offset:352
	ds_store_b128 v15, v[52:55] offset:528
	ds_store_b128 v15, v[40:43] offset:704
	;; [unrolled: 5-line block ×3, first 2 shown]
	v_sub_nc_u16 v0, v101, v8
	global_wb scope:SCOPE_SE
	s_wait_dscnt 0x0
	s_barrier_signal -1
	s_barrier_wait -1
	global_inv scope:SCOPE_SE
	global_load_b128 v[14:17], v[48:49], off offset:704
	v_and_b32_e32 v52, 0xff, v0
	s_clause 0x2
	global_load_b128 v[18:21], v[48:49], off offset:720
	global_load_b128 v[28:31], v[48:49], off offset:736
	;; [unrolled: 1-line block ×3, first 2 shown]
	v_lshlrev_b32_e32 v8, 1, v99
	v_lshlrev_b32_e32 v0, 6, v52
	s_clause 0x3
	global_load_b128 v[42:45], v0, s[4:5] offset:704
	global_load_b128 v[53:56], v0, s[4:5] offset:720
	global_load_b128 v[57:60], v0, s[4:5] offset:736
	global_load_b128 v[61:64], v0, s[4:5] offset:752
	ds_load_b128 v[10:13], v50 offset:2640
	ds_load_b128 v[22:25], v86 offset:5280
	;; [unrolled: 1-line block ×13, first 2 shown]
	ds_load_b128 v[4:7], v86
	v_lshl_add_u32 v52, v52, 4, 0
	s_wait_loadcnt_dscnt 0x60c
	v_mul_f64_e32 v[81:82], v[24:25], v[20:21]
	v_mul_f64_e32 v[36:37], v[10:11], v[16:17]
	s_wait_loadcnt_dscnt 0x50b
	v_mul_f64_e32 v[119:120], v[40:41], v[30:31]
	v_mul_f64_e32 v[121:122], v[22:23], v[20:21]
	;; [unrolled: 1-line block ×4, first 2 shown]
	s_wait_loadcnt_dscnt 0x40a
	v_mul_f64_e32 v[123:124], v[48:49], v[34:35]
	v_mul_f64_e32 v[125:126], v[46:47], v[34:35]
	s_wait_dscnt 0x8
	v_mul_f64_e32 v[131:132], v[71:72], v[20:21]
	s_wait_dscnt 0x7
	v_mul_f64_e32 v[133:134], v[75:76], v[30:31]
	v_mul_f64_e32 v[20:21], v[69:70], v[20:21]
	;; [unrolled: 1-line block ×5, first 2 shown]
	s_wait_dscnt 0x6
	v_mul_f64_e32 v[135:136], v[79:80], v[34:35]
	v_mul_f64_e32 v[137:138], v[77:78], v[34:35]
	s_wait_loadcnt_dscnt 0x304
	v_mul_f64_e32 v[139:140], v[105:106], v[44:45]
	v_mul_f64_e32 v[44:45], v[103:104], v[44:45]
	s_wait_loadcnt_dscnt 0x203
	v_mul_f64_e32 v[141:142], v[109:110], v[55:56]
	s_wait_loadcnt_dscnt 0x102
	;; [unrolled: 2-line block ×3, first 2 shown]
	v_mul_f64_e32 v[145:146], v[117:118], v[63:64]
	v_mul_f64_e32 v[55:56], v[107:108], v[55:56]
	;; [unrolled: 1-line block ×4, first 2 shown]
	v_fma_f64 v[149:150], v[12:13], v[14:15], v[36:37]
	v_fma_f64 v[36:37], v[22:23], v[18:19], -v[81:82]
	v_fma_f64 v[22:23], v[38:39], v[28:29], -v[119:120]
	v_fma_f64 v[34:35], v[24:25], v[18:19], v[121:122]
	v_fma_f64 v[24:25], v[40:41], v[28:29], v[127:128]
	v_fma_f64 v[147:148], v[10:11], v[14:15], -v[26:27]
	v_fma_f64 v[10:11], v[46:47], v[32:33], -v[123:124]
	v_fma_f64 v[12:13], v[48:49], v[32:33], v[125:126]
	v_fma_f64 v[38:39], v[69:70], v[18:19], -v[131:132]
	v_fma_f64 v[26:27], v[73:74], v[28:29], -v[133:134]
	v_fma_f64 v[40:41], v[71:72], v[18:19], v[20:21]
	v_fma_f64 v[28:29], v[75:76], v[28:29], v[30:31]
	v_fma_f64 v[65:66], v[65:66], v[14:15], -v[129:130]
	v_fma_f64 v[67:68], v[67:68], v[14:15], v[16:17]
	v_fma_f64 v[14:15], v[77:78], v[32:33], -v[135:136]
	;; [unrolled: 2-line block ×4, first 2 shown]
	v_fma_f64 v[30:31], v[111:112], v[57:58], -v[143:144]
	v_fma_f64 v[18:19], v[115:116], v[61:62], -v[145:146]
	v_fma_f64 v[44:45], v[109:110], v[53:54], v[55:56]
	ds_load_b128 v[53:56], v51
	v_fma_f64 v[32:33], v[113:114], v[57:58], v[59:60]
	v_fma_f64 v[20:21], v[117:118], v[61:62], v[63:64]
	global_wb scope:SCOPE_SE
	s_wait_dscnt 0x0
	s_barrier_signal -1
	s_barrier_wait -1
	global_inv scope:SCOPE_SE
	v_add_f64_e32 v[111:112], v[6:7], v[149:150]
	v_add_f64_e32 v[57:58], v[36:37], v[22:23]
	v_add_f64_e64 v[125:126], v[149:150], -v[34:35]
	v_add_f64_e32 v[69:70], v[34:35], v[24:25]
	v_add_f64_e32 v[59:60], v[4:5], v[147:148]
	;; [unrolled: 1-line block ×4, first 2 shown]
	v_add_f64_e64 v[63:64], v[149:150], -v[12:13]
	v_add_f64_e32 v[77:78], v[38:39], v[26:27]
	v_add_f64_e64 v[75:76], v[147:148], -v[36:37]
	v_add_f64_e32 v[105:106], v[40:41], v[28:29]
	v_add_f64_e64 v[79:80], v[10:11], -v[22:23]
	v_add_f64_e64 v[103:104], v[36:37], -v[147:148]
	v_add_f64_e32 v[81:82], v[65:66], v[14:15]
	v_add_f64_e32 v[109:110], v[67:68], v[16:17]
	v_add_f64_e64 v[107:108], v[22:23], -v[10:11]
	v_add_f64_e64 v[117:118], v[147:148], -v[10:11]
	;; [unrolled: 1-line block ×3, first 2 shown]
	v_add_f64_e32 v[113:114], v[42:43], v[30:31]
	v_add_f64_e32 v[115:116], v[48:49], v[18:19]
	;; [unrolled: 1-line block ×7, first 2 shown]
	v_add_f64_e64 v[71:72], v[34:35], -v[24:25]
	v_add_f64_e64 v[123:124], v[36:37], -v[22:23]
	v_add_f64_e32 v[153:154], v[2:3], v[46:47]
	v_add_f64_e64 v[129:130], v[34:35], -v[149:150]
	v_add_f64_e64 v[131:132], v[24:25], -v[12:13]
	;; [unrolled: 1-line block ×11, first 2 shown]
	v_fma_f64 v[57:58], v[57:58], -0.5, v[4:5]
	v_add_f64_e64 v[159:160], v[48:49], -v[42:43]
	v_fma_f64 v[69:70], v[69:70], -0.5, v[6:7]
	v_add_f64_e32 v[36:37], v[59:60], v[36:37]
	v_fma_f64 v[4:5], v[61:62], -0.5, v[4:5]
	v_fma_f64 v[6:7], v[73:74], -0.5, v[6:7]
	v_add_f64_e32 v[34:35], v[111:112], v[34:35]
	v_fma_f64 v[77:78], v[77:78], -0.5, v[53:54]
	v_add_f64_e64 v[141:142], v[14:15], -v[26:27]
	v_fma_f64 v[105:106], v[105:106], -0.5, v[55:56]
	v_add_f64_e32 v[59:60], v[75:76], v[79:80]
	v_add_f64_e64 v[145:146], v[26:27], -v[14:15]
	v_fma_f64 v[53:54], v[81:82], -0.5, v[53:54]
	v_fma_f64 v[55:56], v[109:110], -0.5, v[55:56]
	v_add_f64_e64 v[81:82], v[44:45], -v[32:33]
	v_add_f64_e64 v[109:110], v[48:49], -v[18:19]
	v_add_f64_e64 v[48:49], v[42:43], -v[48:49]
	v_fma_f64 v[113:114], v[113:114], -0.5, v[0:1]
	v_fma_f64 v[0:1], v[115:116], -0.5, v[0:1]
	v_add_f64_e64 v[115:116], v[42:43], -v[30:31]
	v_add_f64_e32 v[75:76], v[103:104], v[107:108]
	v_fma_f64 v[119:120], v[119:120], -0.5, v[2:3]
	v_fma_f64 v[2:3], v[121:122], -0.5, v[2:3]
	v_add_f64_e32 v[79:80], v[125:126], v[127:128]
	v_add_f64_e32 v[38:39], v[133:134], v[38:39]
	;; [unrolled: 1-line block ×4, first 2 shown]
	v_add_f64_e64 v[163:164], v[46:47], -v[44:45]
	v_add_f64_e64 v[46:47], v[44:45], -v[46:47]
	;; [unrolled: 1-line block ×3, first 2 shown]
	v_add_f64_e32 v[44:45], v[153:154], v[44:45]
	v_add_f64_e64 v[61:62], v[16:17], -v[28:29]
	v_add_f64_e32 v[103:104], v[129:130], v[131:132]
	v_add_f64_e64 v[73:74], v[28:29], -v[16:17]
	v_add_f64_e64 v[121:122], v[18:19], -v[30:31]
	;; [unrolled: 1-line block ×4, first 2 shown]
	v_fma_f64 v[107:108], v[63:64], s[12:13], v[57:58]
	v_fma_f64 v[57:58], v[63:64], s[14:15], v[57:58]
	;; [unrolled: 1-line block ×16, first 2 shown]
	v_add_f64_e32 v[24:25], v[34:35], v[24:25]
	v_fma_f64 v[151:152], v[157:158], s[12:13], v[113:114]
	v_fma_f64 v[153:154], v[81:82], s[14:15], v[0:1]
	;; [unrolled: 1-line block ×8, first 2 shown]
	v_add_f64_e32 v[26:27], v[38:39], v[26:27]
	v_add_f64_e32 v[28:29], v[40:41], v[28:29]
	;; [unrolled: 1-line block ×13, first 2 shown]
	v_fma_f64 v[34:35], v[71:72], s[2:3], v[107:108]
	v_fma_f64 v[36:37], v[71:72], s[6:7], v[57:58]
	;; [unrolled: 1-line block ×24, first 2 shown]
	v_add_f64_e32 v[4:5], v[26:27], v[14:15]
	v_add_f64_e32 v[6:7], v[28:29], v[16:17]
	;; [unrolled: 1-line block ×3, first 2 shown]
	v_lshlrev_b64_e32 v[115:116], 4, v[8:9]
	v_lshlrev_b32_e32 v8, 1, v102
	s_mov_b32 s3, 0xbfebb67a
	v_add_f64_e32 v[0:1], v[22:23], v[10:11]
	v_add_f64_e32 v[10:11], v[30:31], v[18:19]
	;; [unrolled: 1-line block ×3, first 2 shown]
	v_lshlrev_b64_e32 v[119:120], 4, v[8:9]
	v_lshlrev_b32_e32 v8, 1, v101
	v_fma_f64 v[14:15], v[59:60], s[16:17], v[34:35]
	v_fma_f64 v[18:19], v[59:60], s[16:17], v[36:37]
	;; [unrolled: 1-line block ×16, first 2 shown]
	v_lshlrev_b64_e32 v[67:68], 4, v[8:9]
	v_fma_f64 v[46:47], v[73:74], s[16:17], v[65:66]
	v_fma_f64 v[53:54], v[48:49], s[16:17], v[111:112]
	;; [unrolled: 1-line block ×8, first 2 shown]
	v_lshlrev_b32_e32 v8, 1, v98
	v_add_co_u32 v65, s0, s4, v115
	s_wait_alu 0xf1ff
	v_add_co_ci_u32_e64 v66, s0, s5, v116, s0
	s_delay_alu instid0(VALU_DEP_3)
	v_lshlrev_b64_e32 v[71:72], 4, v[8:9]
	v_lshlrev_b32_e32 v8, 1, v96
	v_add_co_u32 v69, s0, s4, v119
	s_wait_alu 0xf1ff
	v_add_co_ci_u32_e64 v70, s0, s5, v120, s0
	v_add_co_u32 v67, s0, s4, v67
	v_lshlrev_b64_e32 v[73:74], 4, v[8:9]
	s_wait_alu 0xf1ff
	v_add_co_ci_u32_e64 v68, s0, s5, v68, s0
	ds_store_b128 v86, v[14:17] offset:880
	ds_store_b128 v86, v[22:25] offset:1760
	;; [unrolled: 1-line block ×13, first 2 shown]
	ds_store_b128 v86, v[0:3]
	ds_store_b128 v52, v[61:64] offset:12320
	global_wb scope:SCOPE_SE
	s_wait_dscnt 0x0
	s_barrier_signal -1
	s_barrier_wait -1
	global_inv scope:SCOPE_SE
	s_clause 0x3
	global_load_b128 v[0:3], v[65:66], off offset:4240
	global_load_b128 v[4:7], v[65:66], off offset:4224
	;; [unrolled: 1-line block ×4, first 2 shown]
	v_add_co_u32 v28, s0, s4, v71
	s_wait_alu 0xf1ff
	v_add_co_ci_u32_e64 v29, s0, s5, v72, s0
	v_add_co_u32 v36, s0, s4, v73
	s_clause 0x1
	global_load_b128 v[16:19], v[67:68], off offset:4240
	global_load_b128 v[20:23], v[67:68], off offset:4224
	s_wait_alu 0xf1ff
	v_add_co_ci_u32_e64 v37, s0, s5, v74, s0
	s_clause 0x3
	global_load_b128 v[24:27], v[28:29], off offset:4224
	global_load_b128 v[28:31], v[28:29], off offset:4240
	;; [unrolled: 1-line block ×4, first 2 shown]
	ds_load_b128 v[40:43], v86 offset:4400
	ds_load_b128 v[44:47], v86 offset:8800
	;; [unrolled: 1-line block ×10, first 2 shown]
	s_mov_b32 s0, 0xe8584caa
	s_mov_b32 s1, 0x3febb67a
	s_wait_alu 0xfffe
	s_mov_b32 s2, s0
	s_wait_loadcnt_dscnt 0x908
	v_mul_f64_e32 v[102:103], v[46:47], v[2:3]
	s_wait_loadcnt 0x8
	v_mul_f64_e32 v[48:49], v[42:43], v[6:7]
	v_mul_f64_e32 v[6:7], v[40:41], v[6:7]
	;; [unrolled: 1-line block ×3, first 2 shown]
	s_wait_loadcnt_dscnt 0x607
	v_mul_f64_e32 v[104:105], v[54:55], v[14:15]
	v_mul_f64_e32 v[14:15], v[52:53], v[14:15]
	s_wait_dscnt 0x6
	v_mul_f64_e32 v[106:107], v[58:59], v[10:11]
	v_mul_f64_e32 v[10:11], v[56:57], v[10:11]
	s_wait_loadcnt_dscnt 0x504
	v_mul_f64_e32 v[110:111], v[66:67], v[18:19]
	s_wait_loadcnt 0x4
	v_mul_f64_e32 v[108:109], v[62:63], v[22:23]
	v_mul_f64_e32 v[22:23], v[60:61], v[22:23]
	;; [unrolled: 1-line block ×3, first 2 shown]
	s_wait_loadcnt_dscnt 0x303
	v_mul_f64_e32 v[112:113], v[70:71], v[26:27]
	s_wait_loadcnt_dscnt 0x202
	v_mul_f64_e32 v[114:115], v[74:75], v[30:31]
	v_mul_f64_e32 v[26:27], v[68:69], v[26:27]
	;; [unrolled: 1-line block ×3, first 2 shown]
	s_wait_loadcnt_dscnt 0x101
	v_mul_f64_e32 v[116:117], v[78:79], v[34:35]
	s_wait_loadcnt_dscnt 0x0
	v_mul_f64_e32 v[118:119], v[82:83], v[38:39]
	v_mul_f64_e32 v[34:35], v[76:77], v[34:35]
	v_mul_f64_e32 v[38:39], v[80:81], v[38:39]
	v_fma_f64 v[44:45], v[44:45], v[0:1], -v[102:103]
	v_fma_f64 v[40:41], v[40:41], v[4:5], -v[48:49]
	v_fma_f64 v[42:43], v[42:43], v[4:5], v[6:7]
	v_fma_f64 v[46:47], v[46:47], v[0:1], v[2:3]
	v_fma_f64 v[48:49], v[52:53], v[12:13], -v[104:105]
	v_fma_f64 v[52:53], v[54:55], v[12:13], v[14:15]
	v_fma_f64 v[54:55], v[56:57], v[8:9], -v[106:107]
	v_fma_f64 v[56:57], v[58:59], v[8:9], v[10:11]
	ds_load_b128 v[0:3], v86
	ds_load_b128 v[4:7], v51
	v_fma_f64 v[58:59], v[60:61], v[20:21], -v[108:109]
	v_fma_f64 v[20:21], v[62:63], v[20:21], v[22:23]
	v_fma_f64 v[22:23], v[64:65], v[16:17], -v[110:111]
	v_fma_f64 v[60:61], v[66:67], v[16:17], v[18:19]
	v_fma_f64 v[62:63], v[68:69], v[24:25], -v[112:113]
	v_fma_f64 v[64:65], v[72:73], v[28:29], -v[114:115]
	v_fma_f64 v[24:25], v[70:71], v[24:25], v[26:27]
	v_fma_f64 v[26:27], v[74:75], v[28:29], v[30:31]
	v_fma_f64 v[28:29], v[76:77], v[32:33], -v[116:117]
	v_fma_f64 v[30:31], v[80:81], v[36:37], -v[118:119]
	v_fma_f64 v[32:33], v[78:79], v[32:33], v[34:35]
	v_fma_f64 v[34:35], v[82:83], v[36:37], v[38:39]
	ds_load_b128 v[8:11], v50 offset:1760
	ds_load_b128 v[12:15], v50 offset:2640
	;; [unrolled: 1-line block ×3, first 2 shown]
	global_wb scope:SCOPE_SE
	s_wait_dscnt 0x0
	s_barrier_signal -1
	s_barrier_wait -1
	global_inv scope:SCOPE_SE
	v_add_f64_e32 v[36:37], v[40:41], v[44:45]
	v_add_f64_e32 v[82:83], v[0:1], v[40:41]
	;; [unrolled: 1-line block ×3, first 2 shown]
	v_add_f64_e64 v[102:103], v[42:43], -v[46:47]
	v_add_f64_e32 v[42:43], v[2:3], v[42:43]
	v_add_f64_e32 v[66:67], v[48:49], v[54:55]
	v_add_f64_e32 v[68:69], v[52:53], v[56:57]
	v_add_f64_e64 v[40:41], v[40:41], -v[44:45]
	v_add_f64_e32 v[104:105], v[4:5], v[48:49]
	v_add_f64_e32 v[108:109], v[8:9], v[58:59]
	v_add_f64_e32 v[106:107], v[6:7], v[52:53]
	v_add_f64_e32 v[70:71], v[58:59], v[22:23]
	v_add_f64_e32 v[72:73], v[20:21], v[60:61]
	v_add_f64_e64 v[52:53], v[52:53], -v[56:57]
	v_add_f64_e32 v[74:75], v[62:63], v[64:65]
	v_add_f64_e32 v[114:115], v[14:15], v[24:25]
	;; [unrolled: 6-line block ×3, first 2 shown]
	v_add_f64_e32 v[110:111], v[10:11], v[20:21]
	v_add_f64_e32 v[112:113], v[12:13], v[62:63]
	v_add_f64_e64 v[120:121], v[20:21], -v[60:61]
	v_add_f64_e64 v[58:59], v[58:59], -v[22:23]
	;; [unrolled: 1-line block ×6, first 2 shown]
	v_fma_f64 v[36:37], v[36:37], -0.5, v[0:1]
	v_add_f64_e32 v[0:1], v[82:83], v[44:45]
	v_fma_f64 v[38:39], v[38:39], -0.5, v[2:3]
	v_add_f64_e32 v[2:3], v[42:43], v[46:47]
	v_fma_f64 v[66:67], v[66:67], -0.5, v[4:5]
	v_fma_f64 v[68:69], v[68:69], -0.5, v[6:7]
	v_add_f64_e32 v[4:5], v[104:105], v[54:55]
	v_add_f64_e32 v[6:7], v[106:107], v[56:57]
	v_fma_f64 v[70:71], v[70:71], -0.5, v[8:9]
	v_fma_f64 v[72:73], v[72:73], -0.5, v[10:11]
	v_add_f64_e32 v[8:9], v[108:109], v[22:23]
	v_fma_f64 v[74:75], v[74:75], -0.5, v[12:13]
	v_fma_f64 v[76:77], v[76:77], -0.5, v[14:15]
	v_add_f64_e32 v[14:15], v[114:115], v[26:27]
	v_fma_f64 v[78:79], v[78:79], -0.5, v[16:17]
	v_add_f64_e32 v[16:17], v[116:117], v[30:31]
	;; [unrolled: 2-line block ×3, first 2 shown]
	v_add_f64_e32 v[10:11], v[110:111], v[60:61]
	v_add_f64_e32 v[12:13], v[112:113], v[64:65]
	v_fma_f64 v[20:21], v[102:103], s[0:1], v[36:37]
	s_wait_alu 0xfffe
	v_fma_f64 v[24:25], v[102:103], s[2:3], v[36:37]
	v_fma_f64 v[22:23], v[40:41], s[2:3], v[38:39]
	;; [unrolled: 1-line block ×19, first 2 shown]
	ds_store_b128 v86, v[0:3]
	ds_store_b128 v86, v[20:23] offset:4400
	ds_store_b128 v86, v[24:27] offset:8800
	ds_store_b128 v51, v[4:7]
	ds_store_b128 v51, v[28:31] offset:4400
	ds_store_b128 v51, v[32:35] offset:8800
	;; [unrolled: 1-line block ×11, first 2 shown]
	global_wb scope:SCOPE_SE
	s_wait_dscnt 0x0
	s_barrier_signal -1
	s_barrier_wait -1
	global_inv scope:SCOPE_SE
	s_and_saveexec_b32 s0, vcc_lo
	s_cbranch_execz .LBB0_17
; %bb.16:
	v_mad_co_u64_u32 v[8:9], null, s8, v99, 0
	v_mad_co_u64_u32 v[12:13], null, s8, v100, 0
	;; [unrolled: 1-line block ×4, first 2 shown]
	s_delay_alu instid0(VALU_DEP_4)
	v_mov_b32_e32 v0, v9
	v_mad_co_u64_u32 v[20:21], null, s8, v96, 0
	v_mov_b32_e32 v1, v13
	v_add_co_u32 v30, vcc_lo, s10, v84
	s_wait_alu 0xfffd
	v_add_co_ci_u32_e32 v31, vcc_lo, s11, v85, vcc_lo
	s_delay_alu instid0(VALU_DEP_3)
	v_mad_co_u64_u32 v[2:3], null, s9, v99, v[0:1]
	v_mov_b32_e32 v0, v15
	v_mad_co_u64_u32 v[24:25], null, s9, v98, v[19:20]
	v_mov_b32_e32 v19, v21
	v_mad_co_u64_u32 v[22:23], null, s8, v97, 0
	v_mad_co_u64_u32 v[10:11], null, s9, v100, v[1:2]
	v_mov_b32_e32 v9, v2
	v_mad_co_u64_u32 v[15:16], null, s9, v101, v[0:1]
	ds_load_b128 v[0:3], v86
	ds_load_b128 v[4:7], v86 offset:880
	v_mad_co_u64_u32 v[25:26], null, s9, v96, v[19:20]
	v_mov_b32_e32 v13, v10
	v_lshlrev_b64_e32 v[16:17], 4, v[8:9]
	ds_load_b128 v[8:11], v86 offset:1760
	v_lshlrev_b64_e32 v[14:15], 4, v[14:15]
	v_mov_b32_e32 v19, v24
	v_lshlrev_b64_e32 v[12:13], 4, v[12:13]
	v_mov_b32_e32 v21, v23
	v_add_co_u32 v16, vcc_lo, v30, v16
	s_wait_alu 0xfffd
	v_add_co_ci_u32_e32 v17, vcc_lo, v31, v17, vcc_lo
	s_delay_alu instid0(VALU_DEP_4)
	v_add_co_u32 v12, vcc_lo, v30, v12
	s_wait_alu 0xfffd
	v_add_co_ci_u32_e32 v13, vcc_lo, v31, v13, vcc_lo
	v_add_co_u32 v14, vcc_lo, v30, v14
	s_wait_dscnt 0x2
	global_store_b128 v[16:17], v[0:3], off
	s_wait_dscnt 0x1
	global_store_b128 v[12:13], v[4:7], off
	v_lshlrev_b64_e32 v[4:5], 4, v[18:19]
	s_wait_alu 0xfffd
	v_add_co_ci_u32_e32 v15, vcc_lo, v31, v15, vcc_lo
	v_mad_co_u64_u32 v[26:27], null, s9, v97, v[21:22]
	ds_load_b128 v[0:3], v86 offset:2640
	s_wait_dscnt 0x1
	global_store_b128 v[14:15], v[8:11], off
	v_add_co_u32 v14, vcc_lo, v30, v4
	s_wait_alu 0xfffd
	v_add_co_ci_u32_e32 v15, vcc_lo, v31, v5, vcc_lo
	ds_load_b128 v[4:7], v86 offset:3520
	ds_load_b128 v[8:11], v86 offset:4400
	v_mov_b32_e32 v21, v25
	v_mad_co_u64_u32 v[12:13], null, s8, v95, 0
	v_mov_b32_e32 v23, v26
	s_delay_alu instid0(VALU_DEP_3) | instskip(SKIP_1) | instid1(VALU_DEP_3)
	v_lshlrev_b64_e32 v[16:17], 4, v[20:21]
	v_mad_co_u64_u32 v[20:21], null, s8, v94, 0
	v_lshlrev_b64_e32 v[18:19], 4, v[22:23]
	v_mad_co_u64_u32 v[22:23], null, s9, v95, v[13:14]
	s_delay_alu instid0(VALU_DEP_4)
	v_add_co_u32 v16, vcc_lo, v30, v16
	s_wait_alu 0xfffd
	v_add_co_ci_u32_e32 v17, vcc_lo, v31, v17, vcc_lo
	v_mad_co_u64_u32 v[23:24], null, s8, v93, 0
	v_add_co_u32 v18, vcc_lo, v30, v18
	s_wait_alu 0xfffd
	v_add_co_ci_u32_e32 v19, vcc_lo, v31, v19, vcc_lo
	v_mov_b32_e32 v13, v22
	v_mad_co_u64_u32 v[21:22], null, s9, v94, v[21:22]
	s_wait_dscnt 0x2
	global_store_b128 v[14:15], v[0:3], off
	s_wait_dscnt 0x1
	global_store_b128 v[16:17], v[4:7], off
	;; [unrolled: 2-line block ×3, first 2 shown]
	v_mad_co_u64_u32 v[16:17], null, s8, v92, 0
	v_mov_b32_e32 v2, v24
	v_lshlrev_b64_e32 v[0:1], 4, v[12:13]
	v_lshlrev_b64_e32 v[10:11], 4, v[20:21]
	s_delay_alu instid0(VALU_DEP_3) | instskip(SKIP_1) | instid1(VALU_DEP_4)
	v_mad_co_u64_u32 v[8:9], null, s9, v93, v[2:3]
	v_mov_b32_e32 v9, v17
	v_add_co_u32 v18, vcc_lo, v30, v0
	s_wait_alu 0xfffd
	v_add_co_ci_u32_e32 v19, vcc_lo, v31, v1, vcc_lo
	s_delay_alu instid0(VALU_DEP_3)
	v_mad_co_u64_u32 v[20:21], null, s9, v92, v[9:10]
	v_mad_co_u64_u32 v[21:22], null, s8, v91, 0
	ds_load_b128 v[0:3], v86 offset:5280
	ds_load_b128 v[4:7], v86 offset:6160
	v_add_co_u32 v25, vcc_lo, v30, v10
	v_dual_mov_b32 v24, v8 :: v_dual_mov_b32 v17, v20
	s_wait_alu 0xfffd
	v_add_co_ci_u32_e32 v26, vcc_lo, v31, v11, vcc_lo
	v_mov_b32_e32 v20, v22
	ds_load_b128 v[8:11], v86 offset:7040
	ds_load_b128 v[12:15], v86 offset:7920
	v_lshlrev_b64_e32 v[23:24], 4, v[23:24]
	v_lshlrev_b64_e32 v[16:17], 4, v[16:17]
	v_mad_co_u64_u32 v[27:28], null, s9, v91, v[20:21]
	v_mad_co_u64_u32 v[28:29], null, s8, v90, 0
	s_delay_alu instid0(VALU_DEP_4) | instskip(SKIP_2) | instid1(VALU_DEP_4)
	v_add_co_u32 v23, vcc_lo, v30, v23
	s_wait_alu 0xfffd
	v_add_co_ci_u32_e32 v24, vcc_lo, v31, v24, vcc_lo
	v_mov_b32_e32 v22, v27
	s_wait_dscnt 0x3
	global_store_b128 v[18:19], v[0:3], off
	v_add_co_u32 v16, vcc_lo, v30, v16
	v_mov_b32_e32 v0, v29
	v_lshlrev_b64_e32 v[1:2], 4, v[21:22]
	s_wait_alu 0xfffd
	v_add_co_ci_u32_e32 v17, vcc_lo, v31, v17, vcc_lo
	s_wait_dscnt 0x2
	global_store_b128 v[25:26], v[4:7], off
	s_wait_dscnt 0x1
	global_store_b128 v[23:24], v[8:11], off
	;; [unrolled: 2-line block ×3, first 2 shown]
	v_mad_co_u64_u32 v[8:9], null, s8, v89, 0
	v_mad_co_u64_u32 v[3:4], null, s9, v90, v[0:1]
	;; [unrolled: 1-line block ×4, first 2 shown]
	s_delay_alu instid0(VALU_DEP_4)
	v_mov_b32_e32 v0, v9
	v_add_co_u32 v22, vcc_lo, v30, v1
	v_mov_b32_e32 v29, v3
	s_wait_alu 0xfffd
	v_add_co_ci_u32_e32 v23, vcc_lo, v31, v2, vcc_lo
	v_mad_co_u64_u32 v[9:10], null, s9, v89, v[0:1]
	v_mov_b32_e32 v10, v21
	v_lshlrev_b64_e32 v[11:12], 4, v[28:29]
	v_mov_b32_e32 v13, v25
	ds_load_b128 v[0:3], v86 offset:8800
	ds_load_b128 v[4:7], v86 offset:9680
	v_lshlrev_b64_e32 v[28:29], 4, v[8:9]
	v_mad_co_u64_u32 v[14:15], null, s9, v88, v[10:11]
	s_delay_alu instid0(VALU_DEP_1)
	v_mad_co_u64_u32 v[25:26], null, s9, v87, v[13:14]
	v_add_co_u32 v26, vcc_lo, v30, v11
	s_wait_alu 0xfffd
	v_add_co_ci_u32_e32 v27, vcc_lo, v31, v12, vcc_lo
	v_mov_b32_e32 v21, v14
	ds_load_b128 v[8:11], v86 offset:10560
	ds_load_b128 v[12:15], v86 offset:11440
	;; [unrolled: 1-line block ×3, first 2 shown]
	v_add_co_u32 v28, vcc_lo, v30, v28
	v_lshlrev_b64_e32 v[24:25], 4, v[24:25]
	v_lshlrev_b64_e32 v[20:21], 4, v[20:21]
	s_wait_alu 0xfffd
	v_add_co_ci_u32_e32 v29, vcc_lo, v31, v29, vcc_lo
	s_delay_alu instid0(VALU_DEP_2) | instskip(SKIP_1) | instid1(VALU_DEP_3)
	v_add_co_u32 v20, vcc_lo, v30, v20
	s_wait_alu 0xfffd
	v_add_co_ci_u32_e32 v21, vcc_lo, v31, v21, vcc_lo
	v_add_co_u32 v24, vcc_lo, v30, v24
	s_wait_alu 0xfffd
	v_add_co_ci_u32_e32 v25, vcc_lo, v31, v25, vcc_lo
	s_wait_dscnt 0x4
	global_store_b128 v[22:23], v[0:3], off
	s_wait_dscnt 0x3
	global_store_b128 v[26:27], v[4:7], off
	;; [unrolled: 2-line block ×5, first 2 shown]
.LBB0_17:
	s_nop 0
	s_sendmsg sendmsg(MSG_DEALLOC_VGPRS)
	s_endpgm
	.section	.rodata,"a",@progbits
	.p2align	6, 0x0
	.amdhsa_kernel fft_rtc_fwd_len825_factors_11_5_5_3_wgs_55_tpt_55_dp_ip_CI_sbrr_dirReg
		.amdhsa_group_segment_fixed_size 0
		.amdhsa_private_segment_fixed_size 0
		.amdhsa_kernarg_size 88
		.amdhsa_user_sgpr_count 2
		.amdhsa_user_sgpr_dispatch_ptr 0
		.amdhsa_user_sgpr_queue_ptr 0
		.amdhsa_user_sgpr_kernarg_segment_ptr 1
		.amdhsa_user_sgpr_dispatch_id 0
		.amdhsa_user_sgpr_private_segment_size 0
		.amdhsa_wavefront_size32 1
		.amdhsa_uses_dynamic_stack 0
		.amdhsa_enable_private_segment 0
		.amdhsa_system_sgpr_workgroup_id_x 1
		.amdhsa_system_sgpr_workgroup_id_y 0
		.amdhsa_system_sgpr_workgroup_id_z 0
		.amdhsa_system_sgpr_workgroup_info 0
		.amdhsa_system_vgpr_workitem_id 0
		.amdhsa_next_free_vgpr 229
		.amdhsa_next_free_sgpr 38
		.amdhsa_reserve_vcc 1
		.amdhsa_float_round_mode_32 0
		.amdhsa_float_round_mode_16_64 0
		.amdhsa_float_denorm_mode_32 3
		.amdhsa_float_denorm_mode_16_64 3
		.amdhsa_fp16_overflow 0
		.amdhsa_workgroup_processor_mode 1
		.amdhsa_memory_ordered 1
		.amdhsa_forward_progress 0
		.amdhsa_round_robin_scheduling 0
		.amdhsa_exception_fp_ieee_invalid_op 0
		.amdhsa_exception_fp_denorm_src 0
		.amdhsa_exception_fp_ieee_div_zero 0
		.amdhsa_exception_fp_ieee_overflow 0
		.amdhsa_exception_fp_ieee_underflow 0
		.amdhsa_exception_fp_ieee_inexact 0
		.amdhsa_exception_int_div_zero 0
	.end_amdhsa_kernel
	.text
.Lfunc_end0:
	.size	fft_rtc_fwd_len825_factors_11_5_5_3_wgs_55_tpt_55_dp_ip_CI_sbrr_dirReg, .Lfunc_end0-fft_rtc_fwd_len825_factors_11_5_5_3_wgs_55_tpt_55_dp_ip_CI_sbrr_dirReg
                                        ; -- End function
	.section	.AMDGPU.csdata,"",@progbits
; Kernel info:
; codeLenInByte = 13404
; NumSgprs: 40
; NumVgprs: 229
; ScratchSize: 0
; MemoryBound: 0
; FloatMode: 240
; IeeeMode: 1
; LDSByteSize: 0 bytes/workgroup (compile time only)
; SGPRBlocks: 4
; VGPRBlocks: 28
; NumSGPRsForWavesPerEU: 40
; NumVGPRsForWavesPerEU: 229
; Occupancy: 6
; WaveLimiterHint : 1
; COMPUTE_PGM_RSRC2:SCRATCH_EN: 0
; COMPUTE_PGM_RSRC2:USER_SGPR: 2
; COMPUTE_PGM_RSRC2:TRAP_HANDLER: 0
; COMPUTE_PGM_RSRC2:TGID_X_EN: 1
; COMPUTE_PGM_RSRC2:TGID_Y_EN: 0
; COMPUTE_PGM_RSRC2:TGID_Z_EN: 0
; COMPUTE_PGM_RSRC2:TIDIG_COMP_CNT: 0
	.text
	.p2alignl 7, 3214868480
	.fill 96, 4, 3214868480
	.type	__hip_cuid_8b2d9dce61b4a9bd,@object ; @__hip_cuid_8b2d9dce61b4a9bd
	.section	.bss,"aw",@nobits
	.globl	__hip_cuid_8b2d9dce61b4a9bd
__hip_cuid_8b2d9dce61b4a9bd:
	.byte	0                               ; 0x0
	.size	__hip_cuid_8b2d9dce61b4a9bd, 1

	.ident	"AMD clang version 19.0.0git (https://github.com/RadeonOpenCompute/llvm-project roc-6.4.0 25133 c7fe45cf4b819c5991fe208aaa96edf142730f1d)"
	.section	".note.GNU-stack","",@progbits
	.addrsig
	.addrsig_sym __hip_cuid_8b2d9dce61b4a9bd
	.amdgpu_metadata
---
amdhsa.kernels:
  - .args:
      - .actual_access:  read_only
        .address_space:  global
        .offset:         0
        .size:           8
        .value_kind:     global_buffer
      - .offset:         8
        .size:           8
        .value_kind:     by_value
      - .actual_access:  read_only
        .address_space:  global
        .offset:         16
        .size:           8
        .value_kind:     global_buffer
      - .actual_access:  read_only
        .address_space:  global
        .offset:         24
        .size:           8
        .value_kind:     global_buffer
      - .offset:         32
        .size:           8
        .value_kind:     by_value
      - .actual_access:  read_only
        .address_space:  global
        .offset:         40
        .size:           8
        .value_kind:     global_buffer
      - .actual_access:  read_only
        .address_space:  global
        .offset:         48
        .size:           8
        .value_kind:     global_buffer
      - .offset:         56
        .size:           4
        .value_kind:     by_value
      - .actual_access:  read_only
        .address_space:  global
        .offset:         64
        .size:           8
        .value_kind:     global_buffer
      - .actual_access:  read_only
        .address_space:  global
        .offset:         72
        .size:           8
        .value_kind:     global_buffer
      - .address_space:  global
        .offset:         80
        .size:           8
        .value_kind:     global_buffer
    .group_segment_fixed_size: 0
    .kernarg_segment_align: 8
    .kernarg_segment_size: 88
    .language:       OpenCL C
    .language_version:
      - 2
      - 0
    .max_flat_workgroup_size: 55
    .name:           fft_rtc_fwd_len825_factors_11_5_5_3_wgs_55_tpt_55_dp_ip_CI_sbrr_dirReg
    .private_segment_fixed_size: 0
    .sgpr_count:     40
    .sgpr_spill_count: 0
    .symbol:         fft_rtc_fwd_len825_factors_11_5_5_3_wgs_55_tpt_55_dp_ip_CI_sbrr_dirReg.kd
    .uniform_work_group_size: 1
    .uses_dynamic_stack: false
    .vgpr_count:     229
    .vgpr_spill_count: 0
    .wavefront_size: 32
    .workgroup_processor_mode: 1
amdhsa.target:   amdgcn-amd-amdhsa--gfx1201
amdhsa.version:
  - 1
  - 2
...

	.end_amdgpu_metadata
